;; amdgpu-corpus repo=ROCm/rocFFT kind=compiled arch=gfx1030 opt=O3
	.text
	.amdgcn_target "amdgcn-amd-amdhsa--gfx1030"
	.amdhsa_code_object_version 6
	.protected	fft_rtc_fwd_len1728_factors_3_6_6_16_wgs_108_tpt_108_halfLds_dp_op_CI_CI_unitstride_sbrr_R2C_dirReg ; -- Begin function fft_rtc_fwd_len1728_factors_3_6_6_16_wgs_108_tpt_108_halfLds_dp_op_CI_CI_unitstride_sbrr_R2C_dirReg
	.globl	fft_rtc_fwd_len1728_factors_3_6_6_16_wgs_108_tpt_108_halfLds_dp_op_CI_CI_unitstride_sbrr_R2C_dirReg
	.p2align	8
	.type	fft_rtc_fwd_len1728_factors_3_6_6_16_wgs_108_tpt_108_halfLds_dp_op_CI_CI_unitstride_sbrr_R2C_dirReg,@function
fft_rtc_fwd_len1728_factors_3_6_6_16_wgs_108_tpt_108_halfLds_dp_op_CI_CI_unitstride_sbrr_R2C_dirReg: ; @fft_rtc_fwd_len1728_factors_3_6_6_16_wgs_108_tpt_108_halfLds_dp_op_CI_CI_unitstride_sbrr_R2C_dirReg
; %bb.0:
	s_clause 0x2
	s_load_dwordx4 s[12:15], s[4:5], 0x0
	s_load_dwordx4 s[8:11], s[4:5], 0x58
	;; [unrolled: 1-line block ×3, first 2 shown]
	v_mul_u32_u24_e32 v1, 0x25f, v0
	v_mov_b32_e32 v3, 0
	v_add_nc_u32_sdwa v5, s6, v1 dst_sel:DWORD dst_unused:UNUSED_PAD src0_sel:DWORD src1_sel:WORD_1
	v_mov_b32_e32 v1, 0
	v_mov_b32_e32 v6, v3
	v_mov_b32_e32 v2, 0
	s_waitcnt lgkmcnt(0)
	v_cmp_lt_u64_e64 s0, s[14:15], 2
	s_and_b32 vcc_lo, exec_lo, s0
	s_cbranch_vccnz .LBB0_8
; %bb.1:
	s_load_dwordx2 s[0:1], s[4:5], 0x10
	v_mov_b32_e32 v1, 0
	v_mov_b32_e32 v2, 0
	s_add_u32 s2, s18, 8
	s_addc_u32 s3, s19, 0
	s_add_u32 s6, s16, 8
	s_addc_u32 s7, s17, 0
	v_mov_b32_e32 v73, v2
	v_mov_b32_e32 v72, v1
	s_mov_b64 s[22:23], 1
	s_waitcnt lgkmcnt(0)
	s_add_u32 s20, s0, 8
	s_addc_u32 s21, s1, 0
.LBB0_2:                                ; =>This Inner Loop Header: Depth=1
	s_load_dwordx2 s[24:25], s[20:21], 0x0
                                        ; implicit-def: $vgpr76_vgpr77
	s_mov_b32 s0, exec_lo
	s_waitcnt lgkmcnt(0)
	v_or_b32_e32 v4, s25, v6
	v_cmpx_ne_u64_e32 0, v[3:4]
	s_xor_b32 s1, exec_lo, s0
	s_cbranch_execz .LBB0_4
; %bb.3:                                ;   in Loop: Header=BB0_2 Depth=1
	v_cvt_f32_u32_e32 v4, s24
	v_cvt_f32_u32_e32 v7, s25
	s_sub_u32 s0, 0, s24
	s_subb_u32 s26, 0, s25
	v_fmac_f32_e32 v4, 0x4f800000, v7
	v_rcp_f32_e32 v4, v4
	v_mul_f32_e32 v4, 0x5f7ffffc, v4
	v_mul_f32_e32 v7, 0x2f800000, v4
	v_trunc_f32_e32 v7, v7
	v_fmac_f32_e32 v4, 0xcf800000, v7
	v_cvt_u32_f32_e32 v7, v7
	v_cvt_u32_f32_e32 v4, v4
	v_mul_lo_u32 v8, s0, v7
	v_mul_hi_u32 v9, s0, v4
	v_mul_lo_u32 v10, s26, v4
	v_add_nc_u32_e32 v8, v9, v8
	v_mul_lo_u32 v9, s0, v4
	v_add_nc_u32_e32 v8, v8, v10
	v_mul_hi_u32 v10, v4, v9
	v_mul_lo_u32 v11, v4, v8
	v_mul_hi_u32 v12, v4, v8
	v_mul_hi_u32 v13, v7, v9
	v_mul_lo_u32 v9, v7, v9
	v_mul_hi_u32 v14, v7, v8
	v_mul_lo_u32 v8, v7, v8
	v_add_co_u32 v10, vcc_lo, v10, v11
	v_add_co_ci_u32_e32 v11, vcc_lo, 0, v12, vcc_lo
	v_add_co_u32 v9, vcc_lo, v10, v9
	v_add_co_ci_u32_e32 v9, vcc_lo, v11, v13, vcc_lo
	v_add_co_ci_u32_e32 v10, vcc_lo, 0, v14, vcc_lo
	v_add_co_u32 v8, vcc_lo, v9, v8
	v_add_co_ci_u32_e32 v9, vcc_lo, 0, v10, vcc_lo
	v_add_co_u32 v4, vcc_lo, v4, v8
	v_add_co_ci_u32_e32 v7, vcc_lo, v7, v9, vcc_lo
	v_mul_hi_u32 v8, s0, v4
	v_mul_lo_u32 v10, s26, v4
	v_mul_lo_u32 v9, s0, v7
	v_add_nc_u32_e32 v8, v8, v9
	v_mul_lo_u32 v9, s0, v4
	v_add_nc_u32_e32 v8, v8, v10
	v_mul_hi_u32 v10, v4, v9
	v_mul_lo_u32 v11, v4, v8
	v_mul_hi_u32 v12, v4, v8
	v_mul_hi_u32 v13, v7, v9
	v_mul_lo_u32 v9, v7, v9
	v_mul_hi_u32 v14, v7, v8
	v_mul_lo_u32 v8, v7, v8
	v_add_co_u32 v10, vcc_lo, v10, v11
	v_add_co_ci_u32_e32 v11, vcc_lo, 0, v12, vcc_lo
	v_add_co_u32 v9, vcc_lo, v10, v9
	v_add_co_ci_u32_e32 v9, vcc_lo, v11, v13, vcc_lo
	v_add_co_ci_u32_e32 v10, vcc_lo, 0, v14, vcc_lo
	v_add_co_u32 v8, vcc_lo, v9, v8
	v_add_co_ci_u32_e32 v9, vcc_lo, 0, v10, vcc_lo
	v_add_co_u32 v4, vcc_lo, v4, v8
	v_add_co_ci_u32_e32 v11, vcc_lo, v7, v9, vcc_lo
	v_mul_hi_u32 v13, v5, v4
	v_mad_u64_u32 v[9:10], null, v6, v4, 0
	v_mad_u64_u32 v[7:8], null, v5, v11, 0
	;; [unrolled: 1-line block ×3, first 2 shown]
	v_add_co_u32 v4, vcc_lo, v13, v7
	v_add_co_ci_u32_e32 v7, vcc_lo, 0, v8, vcc_lo
	v_add_co_u32 v4, vcc_lo, v4, v9
	v_add_co_ci_u32_e32 v4, vcc_lo, v7, v10, vcc_lo
	v_add_co_ci_u32_e32 v7, vcc_lo, 0, v12, vcc_lo
	v_add_co_u32 v4, vcc_lo, v4, v11
	v_add_co_ci_u32_e32 v9, vcc_lo, 0, v7, vcc_lo
	v_mul_lo_u32 v10, s25, v4
	v_mad_u64_u32 v[7:8], null, s24, v4, 0
	v_mul_lo_u32 v11, s24, v9
	v_sub_co_u32 v7, vcc_lo, v5, v7
	v_add3_u32 v8, v8, v11, v10
	v_sub_nc_u32_e32 v10, v6, v8
	v_subrev_co_ci_u32_e64 v10, s0, s25, v10, vcc_lo
	v_add_co_u32 v11, s0, v4, 2
	v_add_co_ci_u32_e64 v12, s0, 0, v9, s0
	v_sub_co_u32 v13, s0, v7, s24
	v_sub_co_ci_u32_e32 v8, vcc_lo, v6, v8, vcc_lo
	v_subrev_co_ci_u32_e64 v10, s0, 0, v10, s0
	v_cmp_le_u32_e32 vcc_lo, s24, v13
	v_cmp_eq_u32_e64 s0, s25, v8
	v_cndmask_b32_e64 v13, 0, -1, vcc_lo
	v_cmp_le_u32_e32 vcc_lo, s25, v10
	v_cndmask_b32_e64 v14, 0, -1, vcc_lo
	v_cmp_le_u32_e32 vcc_lo, s24, v7
	;; [unrolled: 2-line block ×3, first 2 shown]
	v_cndmask_b32_e64 v15, 0, -1, vcc_lo
	v_cmp_eq_u32_e32 vcc_lo, s25, v10
	v_cndmask_b32_e64 v7, v15, v7, s0
	v_cndmask_b32_e32 v10, v14, v13, vcc_lo
	v_add_co_u32 v13, vcc_lo, v4, 1
	v_add_co_ci_u32_e32 v14, vcc_lo, 0, v9, vcc_lo
	v_cmp_ne_u32_e32 vcc_lo, 0, v10
	v_cndmask_b32_e32 v8, v14, v12, vcc_lo
	v_cndmask_b32_e32 v10, v13, v11, vcc_lo
	v_cmp_ne_u32_e32 vcc_lo, 0, v7
	v_cndmask_b32_e32 v77, v9, v8, vcc_lo
	v_cndmask_b32_e32 v76, v4, v10, vcc_lo
.LBB0_4:                                ;   in Loop: Header=BB0_2 Depth=1
	s_andn2_saveexec_b32 s0, s1
	s_cbranch_execz .LBB0_6
; %bb.5:                                ;   in Loop: Header=BB0_2 Depth=1
	v_cvt_f32_u32_e32 v4, s24
	s_sub_i32 s1, 0, s24
	v_mov_b32_e32 v77, v3
	v_rcp_iflag_f32_e32 v4, v4
	v_mul_f32_e32 v4, 0x4f7ffffe, v4
	v_cvt_u32_f32_e32 v4, v4
	v_mul_lo_u32 v7, s1, v4
	v_mul_hi_u32 v7, v4, v7
	v_add_nc_u32_e32 v4, v4, v7
	v_mul_hi_u32 v4, v5, v4
	v_mul_lo_u32 v7, v4, s24
	v_add_nc_u32_e32 v8, 1, v4
	v_sub_nc_u32_e32 v7, v5, v7
	v_subrev_nc_u32_e32 v9, s24, v7
	v_cmp_le_u32_e32 vcc_lo, s24, v7
	v_cndmask_b32_e32 v7, v7, v9, vcc_lo
	v_cndmask_b32_e32 v4, v4, v8, vcc_lo
	v_cmp_le_u32_e32 vcc_lo, s24, v7
	v_add_nc_u32_e32 v8, 1, v4
	v_cndmask_b32_e32 v76, v4, v8, vcc_lo
.LBB0_6:                                ;   in Loop: Header=BB0_2 Depth=1
	s_or_b32 exec_lo, exec_lo, s0
	v_mul_lo_u32 v4, v77, s24
	v_mul_lo_u32 v9, v76, s25
	s_load_dwordx2 s[0:1], s[6:7], 0x0
	v_mad_u64_u32 v[7:8], null, v76, s24, 0
	s_load_dwordx2 s[24:25], s[2:3], 0x0
	s_add_u32 s22, s22, 1
	s_addc_u32 s23, s23, 0
	s_add_u32 s2, s2, 8
	s_addc_u32 s3, s3, 0
	s_add_u32 s6, s6, 8
	v_add3_u32 v4, v8, v9, v4
	v_sub_co_u32 v5, vcc_lo, v5, v7
	s_addc_u32 s7, s7, 0
	s_add_u32 s20, s20, 8
	v_sub_co_ci_u32_e32 v4, vcc_lo, v6, v4, vcc_lo
	s_addc_u32 s21, s21, 0
	s_waitcnt lgkmcnt(0)
	v_mul_lo_u32 v6, s0, v4
	v_mul_lo_u32 v7, s1, v5
	v_mad_u64_u32 v[1:2], null, s0, v5, v[1:2]
	v_mul_lo_u32 v4, s24, v4
	v_mul_lo_u32 v8, s25, v5
	v_mad_u64_u32 v[72:73], null, s24, v5, v[72:73]
	v_cmp_ge_u64_e64 s0, s[22:23], s[14:15]
	v_add3_u32 v2, v7, v2, v6
	v_add3_u32 v73, v8, v73, v4
	s_and_b32 vcc_lo, exec_lo, s0
	s_cbranch_vccnz .LBB0_9
; %bb.7:                                ;   in Loop: Header=BB0_2 Depth=1
	v_mov_b32_e32 v5, v76
	v_mov_b32_e32 v6, v77
	s_branch .LBB0_2
.LBB0_8:
	v_mov_b32_e32 v73, v2
	v_mov_b32_e32 v77, v6
	;; [unrolled: 1-line block ×4, first 2 shown]
.LBB0_9:
	s_load_dwordx2 s[0:1], s[4:5], 0x28
	v_mul_hi_u32 v3, 0x25ed098, v0
	s_lshl_b64 s[4:5], s[14:15], 3
                                        ; implicit-def: $vgpr74
                                        ; implicit-def: $vgpr78
                                        ; implicit-def: $vgpr83
                                        ; implicit-def: $vgpr82
                                        ; implicit-def: $vgpr81
                                        ; implicit-def: $vgpr80
	s_add_u32 s2, s18, s4
	s_addc_u32 s3, s19, s5
	s_waitcnt lgkmcnt(0)
	v_cmp_gt_u64_e32 vcc_lo, s[0:1], v[76:77]
	v_cmp_le_u64_e64 s0, s[0:1], v[76:77]
	s_and_saveexec_b32 s1, s0
	s_xor_b32 s0, exec_lo, s1
; %bb.10:
	v_mul_u32_u24_e32 v1, 0x6c, v3
                                        ; implicit-def: $vgpr3
	v_sub_nc_u32_e32 v74, v0, v1
                                        ; implicit-def: $vgpr0
                                        ; implicit-def: $vgpr1_vgpr2
	v_add_nc_u32_e32 v78, 0x6c, v74
	v_add_nc_u32_e32 v83, 0xd8, v74
	;; [unrolled: 1-line block ×5, first 2 shown]
; %bb.11:
	s_andn2_saveexec_b32 s1, s0
	s_cbranch_execz .LBB0_13
; %bb.12:
	s_add_u32 s4, s16, s4
	s_addc_u32 s5, s17, s5
	v_lshlrev_b64 v[1:2], 4, v[1:2]
	s_load_dwordx2 s[4:5], s[4:5], 0x0
	s_waitcnt lgkmcnt(0)
	v_mul_lo_u32 v6, s5, v76
	v_mul_lo_u32 v7, s4, v77
	v_mad_u64_u32 v[4:5], null, s4, v76, 0
	v_add3_u32 v5, v5, v7, v6
	v_mul_u32_u24_e32 v6, 0x6c, v3
	v_lshlrev_b64 v[3:4], 4, v[4:5]
	v_sub_nc_u32_e32 v74, v0, v6
	v_lshlrev_b32_e32 v64, 4, v74
	v_add_co_u32 v0, s0, s8, v3
	v_add_co_ci_u32_e64 v3, s0, s9, v4, s0
	v_add_nc_u32_e32 v78, 0x6c, v74
	v_add_co_u32 v0, s0, v0, v1
	v_add_co_ci_u32_e64 v1, s0, v3, v2, s0
	v_add_nc_u32_e32 v83, 0xd8, v74
	v_add_co_u32 v16, s0, v0, v64
	v_add_co_ci_u32_e64 v17, s0, 0, v1, s0
	s_clause 0x1
	global_load_dwordx4 v[0:3], v[16:17], off
	global_load_dwordx4 v[4:7], v[16:17], off offset:1728
	v_add_co_u32 v8, s0, 0x800, v16
	v_add_co_ci_u32_e64 v9, s0, 0, v17, s0
	v_add_co_u32 v12, s0, 0x1000, v16
	v_add_co_ci_u32_e64 v13, s0, 0, v17, s0
	;; [unrolled: 2-line block ×12, first 2 shown]
	s_clause 0xd
	global_load_dwordx4 v[8:11], v[8:9], off offset:1408
	global_load_dwordx4 v[12:15], v[12:13], off offset:1088
	;; [unrolled: 1-line block ×14, first 2 shown]
	v_add_nc_u32_e32 v64, 0, v64
	v_add_nc_u32_e32 v82, 0x144, v74
	v_add_nc_u32_e32 v81, 0x1b0, v74
	v_add_nc_u32_e32 v80, 0x21c, v74
	s_waitcnt vmcnt(15)
	ds_write_b128 v64, v[0:3]
	s_waitcnt vmcnt(14)
	ds_write_b128 v64, v[4:7] offset:1728
	s_waitcnt vmcnt(13)
	ds_write_b128 v64, v[8:11] offset:3456
	;; [unrolled: 2-line block ×15, first 2 shown]
.LBB0_13:
	s_or_b32 exec_lo, exec_lo, s1
	v_lshl_add_u32 v85, v74, 4, 0
	s_load_dwordx2 s[2:3], s[2:3], 0x0
	s_waitcnt lgkmcnt(0)
	s_barrier
	buffer_gl0_inv
	ds_read_b128 v[0:3], v85 offset:9216
	ds_read_b128 v[4:7], v85
	ds_read_b128 v[8:11], v85 offset:1728
	ds_read_b128 v[12:15], v85 offset:10944
	;; [unrolled: 1-line block ×16, first 2 shown]
	s_mov_b32 s0, 0xe8584caa
	s_mov_b32 s1, 0x3febb67a
	;; [unrolled: 1-line block ×4, first 2 shown]
	s_waitcnt lgkmcnt(16)
	v_add_f64 v[86:87], v[4:5], v[0:1]
	v_add_f64 v[88:89], v[6:7], v[2:3]
	s_waitcnt lgkmcnt(14)
	v_add_f64 v[90:91], v[8:9], v[12:13]
	v_add_f64 v[92:93], v[10:11], v[14:15]
	s_waitcnt lgkmcnt(13)
	v_add_f64 v[94:95], v[0:1], v[16:17]
	v_add_f64 v[96:97], v[2:3], -v[18:19]
	s_waitcnt lgkmcnt(11)
	v_add_f64 v[98:99], v[24:25], v[20:21]
	v_add_f64 v[100:101], v[26:27], v[22:23]
	s_waitcnt lgkmcnt(9)
	v_add_f64 v[102:103], v[28:29], v[32:33]
	v_add_f64 v[106:107], v[2:3], v[18:19]
	;; [unrolled: 3-line block ×3, first 2 shown]
	v_add_f64 v[108:109], v[0:1], -v[16:17]
	v_add_f64 v[110:111], v[12:13], v[36:37]
	v_add_f64 v[112:113], v[14:15], -v[38:39]
	v_add_f64 v[14:15], v[14:15], v[38:39]
	s_waitcnt lgkmcnt(5)
	v_add_f64 v[114:115], v[20:21], v[48:49]
	v_add_f64 v[0:1], v[44:45], v[40:41]
	v_add_f64 v[12:13], v[12:13], -v[36:37]
	v_add_f64 v[116:117], v[22:23], -v[50:51]
	s_waitcnt lgkmcnt(2)
	v_add_f64 v[118:119], v[56:57], v[60:61]
	v_lshl_add_u32 v79, v74, 5, v85
	v_add_f64 v[86:87], v[86:87], v[16:17]
	v_add_f64 v[88:89], v[88:89], v[18:19]
	;; [unrolled: 1-line block ×6, first 2 shown]
	v_add_f64 v[90:91], v[20:21], -v[48:49]
	v_add_f64 v[20:21], v[98:99], v[48:49]
	v_add_f64 v[22:23], v[100:101], v[50:51]
	;; [unrolled: 1-line block ×4, first 2 shown]
	v_add_f64 v[98:99], v[34:35], -v[54:55]
	v_add_f64 v[34:35], v[34:35], v[54:55]
	v_add_f64 v[100:101], v[32:33], -v[52:53]
	s_waitcnt lgkmcnt(1)
	v_add_f64 v[2:3], v[2:3], v[66:67]
	v_fma_f64 v[32:33], v[94:95], -0.5, v[4:5]
	v_add_f64 v[52:53], v[40:41], v[64:65]
	v_add_f64 v[94:95], v[42:43], -v[66:67]
	v_add_f64 v[42:43], v[42:43], v[66:67]
	s_waitcnt lgkmcnt(0)
	v_add_f64 v[66:67], v[60:61], v[68:69]
	v_add_f64 v[102:103], v[40:41], -v[64:65]
	v_add_f64 v[40:41], v[62:63], v[70:71]
	v_add_f64 v[50:51], v[104:105], v[54:55]
	v_fma_f64 v[54:55], v[106:107], -0.5, v[6:7]
	v_add_f64 v[6:7], v[16:17], v[70:71]
	v_fma_f64 v[8:9], v[110:111], -0.5, v[8:9]
	v_fma_f64 v[10:11], v[14:15], -0.5, v[10:11]
	;; [unrolled: 1-line block ×4, first 2 shown]
	v_add_f64 v[4:5], v[118:119], v[68:69]
	v_add_f64 v[70:71], v[62:63], -v[70:71]
	v_add_f64 v[68:69], v[60:61], -v[68:69]
	v_fma_f64 v[18:19], v[92:93], -0.5, v[28:29]
	v_add_f64 v[0:1], v[0:1], v[64:65]
	v_fma_f64 v[28:29], v[34:35], -0.5, v[30:31]
	s_barrier
	v_fma_f64 v[24:25], v[96:97], s[0:1], v[32:33]
	v_fma_f64 v[30:31], v[52:53], -0.5, v[44:45]
	v_fma_f64 v[32:33], v[96:97], s[4:5], v[32:33]
	v_fma_f64 v[92:93], v[42:43], -0.5, v[46:47]
	v_fma_f64 v[96:97], v[66:67], -0.5, v[56:57]
	buffer_gl0_inv
	v_fma_f64 v[104:105], v[40:41], -0.5, v[58:59]
	v_mad_i32_i24 v75, v78, 48, 0
	v_fma_f64 v[26:27], v[108:109], s[4:5], v[54:55]
	v_fma_f64 v[34:35], v[108:109], s[0:1], v[54:55]
	;; [unrolled: 1-line block ×14, first 2 shown]
	ds_write_b128 v79, v[86:89]
	ds_write_b128 v79, v[24:27] offset:16
	ds_write_b128 v79, v[32:35] offset:32
	v_fma_f64 v[8:9], v[94:95], s[0:1], v[30:31]
	v_fma_f64 v[12:13], v[94:95], s[4:5], v[30:31]
	;; [unrolled: 1-line block ×8, first 2 shown]
	v_mad_i32_i24 v79, v83, 48, 0
	v_mad_i32_i24 v24, v82, 48, 0
	ds_write_b128 v75, v[36:39]
	ds_write_b128 v75, v[40:43] offset:16
	ds_write_b128 v75, v[44:47] offset:32
	ds_write_b128 v79, v[20:23]
	ds_write_b128 v79, v[52:55] offset:16
	ds_write_b128 v79, v[56:59] offset:32
	v_mad_i32_i24 v20, v81, 48, 0
	s_mov_b32 s1, exec_lo
	ds_write_b128 v24, v[48:51]
	ds_write_b128 v24, v[60:63] offset:16
	ds_write_b128 v24, v[64:67] offset:32
	ds_write_b128 v20, v[0:3]
	ds_write_b128 v20, v[8:11] offset:16
	ds_write_b128 v20, v[12:15] offset:32
	v_cmpx_gt_u32_e32 36, v74
	s_cbranch_execz .LBB0_15
; %bb.14:
	v_mad_i32_i24 v20, v80, 48, 0
	ds_write_b128 v20, v[4:7]
	ds_write_b128 v20, v[16:19] offset:16
	ds_write_b128 v20, v[28:31] offset:32
.LBB0_15:
	s_or_b32 exec_lo, exec_lo, s1
	v_lshlrev_b32_e32 v86, 5, v78
	s_waitcnt lgkmcnt(0)
	s_barrier
	buffer_gl0_inv
	ds_read_b128 v[20:23], v85
	ds_read_b128 v[68:71], v85 offset:4608
	v_sub_nc_u32_e32 v24, v75, v86
	ds_read_b128 v[64:67], v85 offset:9216
	ds_read_b128 v[48:51], v85 offset:6336
	;; [unrolled: 1-line block ×8, first 2 shown]
	ds_read_b128 v[24:27], v24
	ds_read_b128 v[32:35], v85 offset:24768
	v_cmp_gt_u32_e64 s0, 0x48, v74
	s_and_saveexec_b32 s1, s0
	s_cbranch_execz .LBB0_17
; %bb.16:
	v_lshlrev_b32_e32 v0, 5, v83
	v_sub_nc_u32_e32 v0, v79, v0
	ds_read_b128 v[8:11], v85 offset:8064
	ds_read_b128 v[12:15], v85 offset:12672
	;; [unrolled: 1-line block ×4, first 2 shown]
	ds_read_b128 v[0:3], v0
	ds_read_b128 v[28:31], v85 offset:26496
.LBB0_17:
	s_or_b32 exec_lo, exec_lo, s1
	v_and_b32_e32 v79, 0xff, v74
	v_mov_b32_e32 v129, 5
	s_mov_b32 s4, 0xe8584caa
	s_mov_b32 s5, 0x3febb67a
	s_mov_b32 s7, 0xbfebb67a
	v_mul_lo_u16 v84, 0xab, v79
	s_mov_b32 s6, s4
	v_lshrrev_b16 v90, 9, v84
	v_mul_lo_u16 v84, v90, 3
	v_sub_nc_u16 v91, v74, v84
	v_mul_u32_u24_sdwa v84, v91, v129 dst_sel:DWORD dst_unused:UNUSED_PAD src0_sel:BYTE_0 src1_sel:DWORD
	v_lshlrev_b32_e32 v88, 4, v84
	v_and_b32_e32 v84, 0xff, v78
	s_clause 0x3
	global_load_dwordx4 v[93:96], v88, s[12:13]
	global_load_dwordx4 v[97:100], v88, s[12:13] offset:16
	global_load_dwordx4 v[101:104], v88, s[12:13] offset:32
	;; [unrolled: 1-line block ×3, first 2 shown]
	v_mul_lo_u16 v87, 0xab, v84
	global_load_dwordx4 v[109:112], v88, s[12:13] offset:64
	v_lshrrev_b16 v92, 9, v87
	v_mul_lo_u16 v87, v92, 3
	v_sub_nc_u16 v87, v78, v87
	v_mul_u32_u24_sdwa v88, v87, v129 dst_sel:DWORD dst_unused:UNUSED_PAD src0_sel:BYTE_0 src1_sel:DWORD
	v_lshlrev_b32_e32 v130, 4, v88
	v_mov_b32_e32 v88, 0xaaab
	s_clause 0x1
	global_load_dwordx4 v[113:116], v130, s[12:13]
	global_load_dwordx4 v[117:120], v130, s[12:13] offset:16
	v_mul_u32_u24_sdwa v88, v83, v88 dst_sel:DWORD dst_unused:UNUSED_PAD src0_sel:WORD_0 src1_sel:DWORD
	s_clause 0x1
	global_load_dwordx4 v[121:124], v130, s[12:13] offset:32
	global_load_dwordx4 v[125:128], v130, s[12:13] offset:48
	v_lshrrev_b32_e32 v88, 17, v88
	v_mul_lo_u16 v89, v88, 3
	v_sub_nc_u16 v89, v83, v89
	v_mul_u32_u24_sdwa v129, v89, v129 dst_sel:DWORD dst_unused:UNUSED_PAD src0_sel:WORD_0 src1_sel:DWORD
	v_lshlrev_b32_e32 v143, 4, v129
	global_load_dwordx4 v[129:132], v130, s[12:13] offset:64
	s_waitcnt vmcnt(9) lgkmcnt(10)
	v_mul_f64 v[133:134], v[70:71], v[95:96]
	v_mul_f64 v[95:96], v[68:69], v[95:96]
	s_waitcnt vmcnt(8) lgkmcnt(9)
	v_mul_f64 v[135:136], v[66:67], v[99:100]
	v_mul_f64 v[99:100], v[64:65], v[99:100]
	;; [unrolled: 3-line block ×3, first 2 shown]
	v_fma_f64 v[133:134], v[68:69], v[93:94], -v[133:134]
	v_fma_f64 v[139:140], v[70:71], v[93:94], v[95:96]
	s_clause 0x1
	global_load_dwordx4 v[68:71], v143, s[12:13]
	global_load_dwordx4 v[93:96], v143, s[12:13] offset:16
	v_fma_f64 v[135:136], v[64:65], v[97:98], -v[135:136]
	v_fma_f64 v[141:142], v[66:67], v[97:98], v[99:100]
	s_clause 0x1
	global_load_dwordx4 v[64:67], v143, s[12:13] offset:32
	global_load_dwordx4 v[97:100], v143, s[12:13] offset:48
	v_fma_f64 v[137:138], v[60:61], v[101:102], -v[137:138]
	v_fma_f64 v[101:102], v[62:63], v[101:102], v[103:104]
	global_load_dwordx4 v[60:63], v143, s[12:13] offset:64
	s_waitcnt vmcnt(11) lgkmcnt(5)
	v_mul_f64 v[103:104], v[58:59], v[107:108]
	v_mul_f64 v[107:108], v[56:57], v[107:108]
	s_waitcnt vmcnt(0) lgkmcnt(0)
	s_barrier
	buffer_gl0_inv
	v_fma_f64 v[56:57], v[56:57], v[105:106], -v[103:104]
	v_fma_f64 v[58:59], v[58:59], v[105:106], v[107:108]
	v_mul_f64 v[103:104], v[54:55], v[111:112]
	v_mul_f64 v[105:106], v[52:53], v[111:112]
	;; [unrolled: 1-line block ×5, first 2 shown]
	v_fma_f64 v[52:53], v[52:53], v[109:110], -v[103:104]
	v_fma_f64 v[54:55], v[54:55], v[109:110], v[105:106]
	v_mul_f64 v[109:110], v[42:43], v[123:124]
	v_fma_f64 v[48:49], v[48:49], v[113:114], -v[107:108]
	v_fma_f64 v[50:51], v[50:51], v[113:114], v[111:112]
	v_mul_f64 v[107:108], v[38:39], v[127:128]
	v_mul_f64 v[111:112], v[36:37], v[127:128]
	;; [unrolled: 1-line block ×6, first 2 shown]
	v_fma_f64 v[42:43], v[42:43], v[121:122], v[115:116]
	v_fma_f64 v[40:41], v[40:41], v[121:122], -v[109:110]
	v_fma_f64 v[107:108], v[36:37], v[125:126], -v[107:108]
	v_fma_f64 v[37:38], v[38:39], v[125:126], v[111:112]
	v_fma_f64 v[44:45], v[44:45], v[117:118], -v[103:104]
	v_fma_f64 v[46:47], v[46:47], v[117:118], v[105:106]
	;; [unrolled: 2-line block ×3, first 2 shown]
	v_mov_b32_e32 v39, 0x120
	v_mov_b32_e32 v36, 4
	v_mul_u32_u24_sdwa v144, v92, v39 dst_sel:DWORD dst_unused:UNUSED_PAD src0_sel:WORD_0 src1_sel:DWORD
	v_mul_u32_u24_sdwa v143, v90, v39 dst_sel:DWORD dst_unused:UNUSED_PAD src0_sel:WORD_0 src1_sel:DWORD
	v_lshlrev_b32_sdwa v145, v36, v91 dst_sel:DWORD dst_unused:UNUSED_PAD src0_sel:DWORD src1_sel:BYTE_0
	v_add_f64 v[90:91], v[133:134], v[137:138]
	v_add_f64 v[117:118], v[48:49], v[40:41]
	v_add_f64 v[113:114], v[46:47], -v[37:38]
	v_add_f64 v[119:120], v[42:43], -v[34:35]
	v_mul_f64 v[103:104], v[10:11], v[70:71]
	v_mul_f64 v[70:71], v[8:9], v[70:71]
	;; [unrolled: 1-line block ×10, first 2 shown]
	v_fma_f64 v[8:9], v[8:9], v[68:69], -v[103:104]
	v_fma_f64 v[10:11], v[10:11], v[68:69], v[70:71]
	v_fma_f64 v[12:13], v[12:13], v[93:94], -v[105:106]
	v_fma_f64 v[4:5], v[4:5], v[64:65], -v[109:110]
	v_fma_f64 v[6:7], v[6:7], v[64:65], v[66:67]
	v_fma_f64 v[14:15], v[14:15], v[93:94], v[95:96]
	v_fma_f64 v[16:17], v[16:17], v[97:98], -v[115:116]
	v_fma_f64 v[28:29], v[28:29], v[60:61], -v[111:112]
	v_fma_f64 v[30:31], v[30:31], v[60:61], v[62:63]
	v_fma_f64 v[18:19], v[18:19], v[97:98], v[99:100]
	v_add_f64 v[60:61], v[135:136], v[56:57]
	v_add_f64 v[92:93], v[137:138], v[52:53]
	;; [unrolled: 1-line block ×3, first 2 shown]
	v_add_f64 v[94:95], v[101:102], -v[54:55]
	v_add_f64 v[96:97], v[139:140], v[101:102]
	v_add_f64 v[102:103], v[40:41], v[32:33]
	;; [unrolled: 1-line block ×5, first 2 shown]
	v_add_f64 v[66:67], v[141:142], -v[58:59]
	v_add_f64 v[68:69], v[22:23], v[141:142]
	v_add_f64 v[70:71], v[135:136], -v[56:57]
	v_add_f64 v[100:101], v[137:138], -v[52:53]
	v_add_f64 v[111:112], v[44:45], v[107:108]
	v_add_f64 v[115:116], v[26:27], v[46:47]
	;; [unrolled: 1-line block ×4, first 2 shown]
	v_add_f64 v[39:40], v[40:41], -v[32:33]
	v_add_f64 v[131:132], v[2:3], v[14:15]
	v_add_f64 v[123:124], v[4:5], v[28:29]
	;; [unrolled: 1-line block ×3, first 2 shown]
	v_add_f64 v[135:136], v[6:7], -v[30:31]
	v_add_f64 v[6:7], v[10:11], v[6:7]
	v_fma_f64 v[92:93], v[92:93], -0.5, v[133:134]
	v_fma_f64 v[98:99], v[98:99], -0.5, v[139:140]
	v_add_f64 v[133:134], v[8:9], v[4:5]
	v_add_f64 v[4:5], v[4:5], -v[28:29]
	v_fma_f64 v[20:21], v[60:61], -0.5, v[20:21]
	v_add_f64 v[129:130], v[14:15], -v[18:19]
	v_add_f64 v[14:15], v[14:15], v[18:19]
	v_fma_f64 v[50:51], v[109:110], -0.5, v[50:51]
	v_fma_f64 v[48:49], v[102:103], -0.5, v[48:49]
	v_add_f64 v[104:105], v[24:25], v[44:45]
	v_add_f64 v[127:128], v[12:13], v[16:17]
	v_fma_f64 v[22:23], v[62:63], -0.5, v[22:23]
	v_add_f64 v[56:57], v[64:65], v[56:57]
	v_add_f64 v[58:59], v[68:69], v[58:59]
	v_add_f64 v[52:53], v[90:91], v[52:53]
	v_fma_f64 v[62:63], v[111:112], -0.5, v[24:25]
	v_add_f64 v[64:65], v[115:116], v[37:38]
	v_fma_f64 v[37:38], v[46:47], -0.5, v[26:27]
	v_fma_f64 v[8:9], v[123:124], -0.5, v[8:9]
	;; [unrolled: 1-line block ×3, first 2 shown]
	v_add_f64 v[46:47], v[117:118], v[32:33]
	v_add_f64 v[33:34], v[42:43], v[34:35]
	v_fma_f64 v[68:69], v[94:95], s[6:7], v[92:93]
	v_fma_f64 v[41:42], v[100:101], s[6:7], v[98:99]
	;; [unrolled: 1-line block ×6, first 2 shown]
	v_fma_f64 v[2:3], v[14:15], -0.5, v[2:3]
	v_fma_f64 v[14:15], v[39:40], s[6:7], v[50:51]
	v_fma_f64 v[94:95], v[119:120], s[6:7], v[48:49]
	;; [unrolled: 1-line block ×3, first 2 shown]
	v_add_f64 v[54:55], v[96:97], v[54:55]
	v_fma_f64 v[50:51], v[39:40], s[4:5], v[50:51]
	v_add_f64 v[44:45], v[44:45], -v[107:108]
	v_add_f64 v[125:126], v[0:1], v[12:13]
	v_add_f64 v[12:13], v[12:13], -v[16:17]
	v_add_f64 v[60:61], v[104:105], v[107:108]
	v_fma_f64 v[0:1], v[127:128], -0.5, v[0:1]
	v_fma_f64 v[108:109], v[113:114], s[4:5], v[62:63]
	v_fma_f64 v[100:101], v[135:136], s[6:7], v[8:9]
	;; [unrolled: 1-line block ×7, first 2 shown]
	v_mul_f64 v[70:71], v[41:42], s[4:5]
	v_mul_f64 v[102:103], v[68:69], -0.5
	v_mul_f64 v[104:105], v[90:91], s[6:7]
	v_mul_f64 v[106:107], v[92:93], -0.5
	v_fma_f64 v[110:111], v[113:114], s[6:7], v[62:63]
	v_add_f64 v[96:97], v[133:134], v[28:29]
	v_add_f64 v[6:7], v[6:7], v[30:31]
	;; [unrolled: 1-line block ×3, first 2 shown]
	v_add_f64 v[29:30], v[56:57], -v[52:53]
	v_mul_f64 v[52:53], v[14:15], s[4:5]
	v_mul_f64 v[56:57], v[48:49], s[6:7]
	v_add_f64 v[26:27], v[58:59], v[54:55]
	v_add_f64 v[31:32], v[58:59], -v[54:55]
	v_mul_f64 v[54:55], v[94:95], -0.5
	v_mul_f64 v[58:59], v[50:51], -0.5
	v_add_f64 v[16:17], v[125:126], v[16:17]
	v_mul_f64 v[116:117], v[100:101], -0.5
	v_mul_f64 v[62:63], v[66:67], s[4:5]
	v_mul_f64 v[118:119], v[8:9], s[6:7]
	v_mul_f64 v[120:121], v[4:5], -0.5
	v_add_f64 v[18:19], v[131:132], v[18:19]
	v_fma_f64 v[112:113], v[44:45], s[6:7], v[37:38]
	v_fma_f64 v[114:115], v[44:45], s[4:5], v[37:38]
	v_add_f64 v[39:40], v[64:65], v[33:34]
	v_fma_f64 v[70:71], v[90:91], 0.5, v[70:71]
	v_fma_f64 v[90:91], v[92:93], s[4:5], v[102:103]
	v_fma_f64 v[92:93], v[41:42], 0.5, v[104:105]
	v_fma_f64 v[68:69], v[68:69], s[6:7], v[106:107]
	v_add_f64 v[43:44], v[64:65], -v[33:34]
	v_fma_f64 v[33:34], v[129:130], s[4:5], v[0:1]
	v_fma_f64 v[102:103], v[129:130], s[6:7], v[0:1]
	;; [unrolled: 1-line block ×4, first 2 shown]
	v_fma_f64 v[104:105], v[48:49], 0.5, v[52:53]
	v_fma_f64 v[122:123], v[14:15], 0.5, v[56:57]
	v_fma_f64 v[106:107], v[50:51], s[4:5], v[54:55]
	v_fma_f64 v[124:125], v[94:95], s[6:7], v[58:59]
	v_add_f64 v[37:38], v[60:61], v[46:47]
	v_fma_f64 v[116:117], v[4:5], s[4:5], v[116:117]
	v_fma_f64 v[130:131], v[8:9], 0.5, v[62:63]
	v_fma_f64 v[118:119], v[66:67], 0.5, v[118:119]
	v_fma_f64 v[100:101], v[100:101], s[6:7], v[120:121]
	v_add_f64 v[41:42], v[60:61], -v[46:47]
	v_add_f64 v[0:1], v[16:17], v[96:97]
	v_add_f64 v[2:3], v[18:19], v[6:7]
	v_add_f64 v[12:13], v[16:17], -v[96:97]
	v_add_f64 v[14:15], v[18:19], -v[6:7]
	v_add_f64 v[49:50], v[20:21], v[90:91]
	v_add_f64 v[47:48], v[10:11], v[92:93]
	;; [unrolled: 1-line block ×3, first 2 shown]
	v_add_f64 v[57:58], v[20:21], -v[90:91]
	v_add_f64 v[55:56], v[10:11], -v[92:93]
	;; [unrolled: 1-line block ×3, first 2 shown]
	v_add_f64 v[45:46], v[98:99], v[70:71]
	v_add_f64 v[53:54], v[98:99], -v[70:71]
	v_add_f64 v[61:62], v[108:109], v[104:105]
	v_add_f64 v[63:64], v[112:113], v[122:123]
	;; [unrolled: 1-line block ×4, first 2 shown]
	v_add_f64 v[90:91], v[108:109], -v[104:105]
	v_add_f64 v[8:9], v[102:103], v[116:117]
	v_add_f64 v[4:5], v[33:34], v[130:131]
	;; [unrolled: 1-line block ×4, first 2 shown]
	v_add_f64 v[16:17], v[33:34], -v[130:131]
	v_add_f64 v[20:21], v[102:103], -v[116:117]
	v_add_f64 v[18:19], v[126:127], -v[118:119]
	v_add_f64 v[22:23], v[128:129], -v[100:101]
	v_add_f64 v[92:93], v[112:113], -v[122:123]
	v_add_f64 v[94:95], v[110:111], -v[106:107]
	v_add_f64 v[96:97], v[114:115], -v[124:125]
	v_lshlrev_b32_sdwa v33, v36, v87 dst_sel:DWORD dst_unused:UNUSED_PAD src0_sel:DWORD src1_sel:BYTE_0
	v_sub_nc_u32_e32 v28, 0, v86
	v_add3_u32 v34, 0, v143, v145
	v_add3_u32 v33, 0, v144, v33
	ds_write_b128 v34, v[24:27]
	ds_write_b128 v34, v[29:32] offset:144
	ds_write_b128 v34, v[45:48] offset:48
	;; [unrolled: 1-line block ×5, first 2 shown]
	ds_write_b128 v33, v[37:40]
	ds_write_b128 v33, v[61:64] offset:48
	ds_write_b128 v33, v[65:68] offset:96
	;; [unrolled: 1-line block ×5, first 2 shown]
	s_and_saveexec_b32 s1, s0
	s_cbranch_execz .LBB0_19
; %bb.18:
	v_mul_lo_u16 v24, v88, 18
	v_lshlrev_b32_sdwa v25, v36, v89 dst_sel:DWORD dst_unused:UNUSED_PAD src0_sel:DWORD src1_sel:WORD_0
	v_lshlrev_b32_sdwa v24, v36, v24 dst_sel:DWORD dst_unused:UNUSED_PAD src0_sel:DWORD src1_sel:WORD_0
	v_add3_u32 v24, 0, v25, v24
	ds_write_b128 v24, v[0:3]
	ds_write_b128 v24, v[4:7] offset:48
	ds_write_b128 v24, v[8:11] offset:96
	;; [unrolled: 1-line block ×5, first 2 shown]
.LBB0_19:
	s_or_b32 exec_lo, exec_lo, s1
	s_waitcnt lgkmcnt(0)
	s_barrier
	buffer_gl0_inv
	ds_read_b128 v[24:27], v85
	ds_read_b128 v[52:55], v85 offset:4608
	v_add_nc_u32_e32 v87, v75, v28
	ds_read_b128 v[40:43], v85 offset:9216
	ds_read_b128 v[48:51], v85 offset:6336
	ds_read_b128 v[64:67], v85 offset:13824
	ds_read_b128 v[32:35], v85 offset:10944
	ds_read_b128 v[44:47], v85 offset:18432
	ds_read_b128 v[56:59], v85 offset:15552
	ds_read_b128 v[68:71], v85 offset:23040
	ds_read_b128 v[36:39], v85 offset:20160
	ds_read_b128 v[28:31], v87
	ds_read_b128 v[60:63], v85 offset:24768
	v_lshl_add_u32 v86, v83, 4, 0
	s_and_saveexec_b32 s1, s0
	s_cbranch_execz .LBB0_21
; %bb.20:
	ds_read_b128 v[4:7], v85 offset:8064
	ds_read_b128 v[8:11], v85 offset:12672
	;; [unrolled: 1-line block ×4, first 2 shown]
	ds_read_b128 v[0:3], v86
	ds_read_b128 v[20:23], v85 offset:26496
.LBB0_21:
	s_or_b32 exec_lo, exec_lo, s1
	v_mul_lo_u16 v75, v79, 57
	s_mov_b32 s6, s4
	v_lshrrev_b16 v79, 10, v75
	v_mul_lo_u16 v75, v84, 57
	v_mul_lo_u16 v84, v79, 18
	v_lshrrev_b16 v138, 10, v75
	v_mov_b32_e32 v75, 5
	v_sub_nc_u16 v84, v74, v84
	v_mul_lo_u16 v88, v138, 18
	v_mul_u32_u24_sdwa v89, v84, v75 dst_sel:DWORD dst_unused:UNUSED_PAD src0_sel:BYTE_0 src1_sel:DWORD
	v_sub_nc_u16 v139, v78, v88
	v_lshlrev_b32_e32 v116, 4, v89
	v_mul_u32_u24_sdwa v96, v139, v75 dst_sel:DWORD dst_unused:UNUSED_PAD src0_sel:BYTE_0 src1_sel:DWORD
	s_clause 0x1
	global_load_dwordx4 v[88:91], v116, s[12:13] offset:272
	global_load_dwordx4 v[92:95], v116, s[12:13] offset:304
	v_lshlrev_b32_e32 v124, 4, v96
	s_clause 0x7
	global_load_dwordx4 v[96:99], v124, s[12:13] offset:272
	global_load_dwordx4 v[100:103], v124, s[12:13] offset:304
	;; [unrolled: 1-line block ×8, first 2 shown]
	s_waitcnt vmcnt(0) lgkmcnt(0)
	s_barrier
	buffer_gl0_inv
	v_mul_f64 v[132:133], v[58:59], v[98:99]
	v_mul_f64 v[128:129], v[66:67], v[90:91]
	;; [unrolled: 1-line block ×10, first 2 shown]
	v_fma_f64 v[56:57], v[56:57], v[96:97], -v[132:133]
	v_fma_f64 v[64:65], v[64:65], v[88:89], -v[128:129]
	v_fma_f64 v[66:67], v[66:67], v[88:89], v[90:91]
	v_fma_f64 v[70:71], v[70:71], v[92:93], v[130:131]
	v_fma_f64 v[68:69], v[68:69], v[92:93], -v[94:95]
	v_mul_f64 v[88:89], v[50:51], v[110:111]
	v_mul_f64 v[90:91], v[48:49], v[110:111]
	v_fma_f64 v[58:59], v[58:59], v[96:97], v[98:99]
	v_fma_f64 v[62:63], v[62:63], v[100:101], v[134:135]
	v_fma_f64 v[60:61], v[60:61], v[100:101], -v[102:103]
	v_mul_f64 v[92:93], v[42:43], v[114:115]
	v_mul_f64 v[94:95], v[40:41], v[114:115]
	;; [unrolled: 1-line block ×4, first 2 shown]
	v_fma_f64 v[52:53], v[52:53], v[104:105], -v[136:137]
	v_fma_f64 v[54:55], v[54:55], v[104:105], v[106:107]
	v_mul_f64 v[104:105], v[34:35], v[122:123]
	v_mul_f64 v[106:107], v[32:33], v[122:123]
	;; [unrolled: 1-line block ×4, first 2 shown]
	v_mov_b32_e32 v122, 0x6c0
	v_mul_u32_u24_sdwa v79, v79, v122 dst_sel:DWORD dst_unused:UNUSED_PAD src0_sel:WORD_0 src1_sel:DWORD
	v_add_f64 v[100:101], v[66:67], v[70:71]
	v_add_f64 v[102:103], v[64:65], v[68:69]
	v_fma_f64 v[48:49], v[48:49], v[108:109], -v[88:89]
	v_fma_f64 v[50:51], v[50:51], v[108:109], v[90:91]
	v_add_f64 v[88:89], v[58:59], v[62:63]
	v_add_f64 v[90:91], v[56:57], v[60:61]
	v_fma_f64 v[40:41], v[40:41], v[112:113], -v[92:93]
	v_fma_f64 v[42:43], v[42:43], v[112:113], v[94:95]
	v_fma_f64 v[44:45], v[44:45], v[116:117], -v[96:97]
	v_fma_f64 v[46:47], v[46:47], v[116:117], v[98:99]
	v_add_f64 v[92:93], v[66:67], -v[70:71]
	v_add_f64 v[94:95], v[64:65], -v[68:69]
	v_fma_f64 v[96:97], v[100:101], -0.5, v[54:55]
	v_fma_f64 v[98:99], v[102:103], -0.5, v[52:53]
	v_fma_f64 v[100:101], v[32:33], v[120:121], -v[104:105]
	v_fma_f64 v[33:34], v[34:35], v[120:121], v[106:107]
	v_fma_f64 v[35:36], v[36:37], v[124:125], -v[110:111]
	v_fma_f64 v[37:38], v[38:39], v[124:125], v[114:115]
	v_add_f64 v[102:103], v[58:59], -v[62:63]
	v_add_f64 v[104:105], v[56:57], -v[60:61]
	v_fma_f64 v[88:89], v[88:89], -0.5, v[50:51]
	v_fma_f64 v[90:91], v[90:91], -0.5, v[48:49]
	v_add_f64 v[106:107], v[40:41], v[44:45]
	v_add_f64 v[110:111], v[42:43], v[46:47]
	v_add_f64 v[112:113], v[42:43], -v[46:47]
	v_add_f64 v[42:43], v[26:27], v[42:43]
	v_add_f64 v[108:109], v[24:25], v[40:41]
	;; [unrolled: 1-line block ×4, first 2 shown]
	v_add_f64 v[39:40], v[40:41], -v[44:45]
	v_add_f64 v[48:49], v[48:49], v[56:57]
	v_add_f64 v[50:51], v[50:51], v[58:59]
	v_mov_b32_e32 v32, 4
	v_fma_f64 v[114:115], v[94:95], s[6:7], v[96:97]
	v_fma_f64 v[116:117], v[92:93], s[6:7], v[98:99]
	v_fma_f64 v[92:93], v[92:93], s[4:5], v[98:99]
	v_fma_f64 v[94:95], v[94:95], s[4:5], v[96:97]
	v_add_f64 v[96:97], v[100:101], v[35:36]
	v_add_f64 v[98:99], v[33:34], v[37:38]
	;; [unrolled: 1-line block ×4, first 2 shown]
	v_fma_f64 v[118:119], v[104:105], s[6:7], v[88:89]
	v_fma_f64 v[120:121], v[102:103], s[6:7], v[90:91]
	;; [unrolled: 1-line block ×4, first 2 shown]
	v_fma_f64 v[24:25], v[106:107], -0.5, v[24:25]
	v_fma_f64 v[26:27], v[110:111], -0.5, v[26:27]
	v_add_f64 v[56:57], v[100:101], -v[35:36]
	v_add_f64 v[33:34], v[33:34], -v[37:38]
	v_add_f64 v[41:42], v[42:43], v[46:47]
	v_add_f64 v[44:45], v[108:109], v[44:45]
	;; [unrolled: 1-line block ×4, first 2 shown]
	v_mul_f64 v[58:59], v[114:115], s[4:5]
	v_mul_f64 v[100:101], v[116:117], -0.5
	v_mul_f64 v[102:103], v[92:93], s[6:7]
	v_mul_f64 v[104:105], v[94:95], -0.5
	v_fma_f64 v[28:29], v[96:97], -0.5, v[28:29]
	v_fma_f64 v[30:31], v[98:99], -0.5, v[30:31]
	v_add_f64 v[66:67], v[66:67], v[37:38]
	v_add_f64 v[37:38], v[48:49], v[60:61]
	v_mul_f64 v[46:47], v[118:119], s[4:5]
	v_mul_f64 v[96:97], v[120:121], -0.5
	v_mul_f64 v[98:99], v[90:91], s[6:7]
	v_mul_f64 v[106:107], v[88:89], -0.5
	v_add_f64 v[48:49], v[50:51], v[62:63]
	v_fma_f64 v[50:51], v[112:113], s[4:5], v[24:25]
	v_fma_f64 v[62:63], v[39:40], s[6:7], v[26:27]
	;; [unrolled: 1-line block ×4, first 2 shown]
	v_add_f64 v[64:65], v[64:65], v[35:36]
	v_add_f64 v[24:25], v[44:45], v[52:53]
	;; [unrolled: 1-line block ×3, first 2 shown]
	v_fma_f64 v[58:59], v[92:93], 0.5, v[58:59]
	v_fma_f64 v[70:71], v[94:95], s[4:5], v[100:101]
	v_fma_f64 v[92:93], v[114:115], 0.5, v[102:103]
	v_fma_f64 v[94:95], v[116:117], s[6:7], v[104:105]
	v_fma_f64 v[100:101], v[33:34], s[4:5], v[28:29]
	;; [unrolled: 1-line block ×5, first 2 shown]
	v_fma_f64 v[90:91], v[90:91], 0.5, v[46:47]
	v_fma_f64 v[88:89], v[88:89], s[4:5], v[96:97]
	v_fma_f64 v[96:97], v[118:119], 0.5, v[98:99]
	v_fma_f64 v[98:99], v[120:121], s[6:7], v[106:107]
	v_add_f64 v[28:29], v[44:45], -v[52:53]
	v_add_f64 v[30:31], v[41:42], -v[54:55]
	v_add_f64 v[35:36], v[66:67], v[48:49]
	v_add_f64 v[39:40], v[66:67], -v[48:49]
	v_mul_u32_u24_sdwa v106, v138, v122 dst_sel:DWORD dst_unused:UNUSED_PAD src0_sel:WORD_0 src1_sel:DWORD
	v_add_f64 v[33:34], v[64:65], v[37:38]
	v_add_f64 v[37:38], v[64:65], -v[37:38]
	v_add_f64 v[41:42], v[50:51], v[58:59]
	v_add_f64 v[45:46], v[60:61], v[70:71]
	;; [unrolled: 1-line block ×4, first 2 shown]
	v_add_f64 v[49:50], v[50:51], -v[58:59]
	v_add_f64 v[51:52], v[62:63], -v[92:93]
	;; [unrolled: 1-line block ×4, first 2 shown]
	v_add_f64 v[57:58], v[100:101], v[90:91]
	v_add_f64 v[61:62], v[102:103], v[88:89]
	;; [unrolled: 1-line block ×4, first 2 shown]
	v_add_f64 v[65:66], v[100:101], -v[90:91]
	v_add_f64 v[67:68], v[104:105], -v[96:97]
	;; [unrolled: 1-line block ×4, first 2 shown]
	v_lshlrev_b32_sdwa v69, v32, v84 dst_sel:DWORD dst_unused:UNUSED_PAD src0_sel:DWORD src1_sel:BYTE_0
	v_lshlrev_b32_sdwa v70, v32, v139 dst_sel:DWORD dst_unused:UNUSED_PAD src0_sel:DWORD src1_sel:BYTE_0
	v_add3_u32 v69, 0, v79, v69
	v_add3_u32 v70, 0, v106, v70
	ds_write_b128 v69, v[24:27]
	ds_write_b128 v69, v[28:31] offset:864
	ds_write_b128 v69, v[41:44] offset:288
	;; [unrolled: 1-line block ×5, first 2 shown]
	ds_write_b128 v70, v[33:36]
	ds_write_b128 v70, v[57:60] offset:288
	ds_write_b128 v70, v[61:64] offset:576
	;; [unrolled: 1-line block ×5, first 2 shown]
	s_and_saveexec_b32 s1, s0
	s_cbranch_execz .LBB0_23
; %bb.22:
	v_mov_b32_e32 v24, 0xe38f
	v_mul_u32_u24_sdwa v24, v83, v24 dst_sel:DWORD dst_unused:UNUSED_PAD src0_sel:WORD_0 src1_sel:DWORD
	v_lshrrev_b32_e32 v51, 20, v24
	v_mul_lo_u16 v24, v51, 18
	v_sub_nc_u16 v52, v83, v24
	v_mul_u32_u24_sdwa v24, v52, v75 dst_sel:DWORD dst_unused:UNUSED_PAD src0_sel:WORD_0 src1_sel:DWORD
	v_lshlrev_b32_e32 v41, 4, v24
	s_clause 0x4
	global_load_dwordx4 v[24:27], v41, s[12:13] offset:272
	global_load_dwordx4 v[28:31], v41, s[12:13] offset:304
	;; [unrolled: 1-line block ×5, first 2 shown]
	s_waitcnt vmcnt(4)
	v_mul_f64 v[45:46], v[14:15], v[26:27]
	v_mul_f64 v[26:27], v[12:13], v[26:27]
	s_waitcnt vmcnt(3)
	v_mul_f64 v[47:48], v[20:21], v[30:31]
	v_mul_f64 v[30:31], v[22:23], v[30:31]
	;; [unrolled: 3-line block ×3, first 2 shown]
	v_fma_f64 v[12:13], v[12:13], v[24:25], -v[45:46]
	v_fma_f64 v[14:15], v[14:15], v[24:25], v[26:27]
	v_fma_f64 v[22:23], v[22:23], v[28:29], v[47:48]
	v_fma_f64 v[20:21], v[20:21], v[28:29], -v[30:31]
	s_waitcnt vmcnt(1)
	v_mul_f64 v[24:25], v[10:11], v[39:40]
	v_mul_f64 v[26:27], v[8:9], v[39:40]
	s_waitcnt vmcnt(0)
	v_mul_f64 v[28:29], v[16:17], v[43:44]
	v_fma_f64 v[4:5], v[4:5], v[33:34], -v[49:50]
	v_fma_f64 v[6:7], v[6:7], v[33:34], v[35:36]
	v_mul_f64 v[35:36], v[18:19], v[43:44]
	v_add_f64 v[30:31], v[14:15], v[22:23]
	v_add_f64 v[33:34], v[12:13], v[20:21]
	v_fma_f64 v[8:9], v[8:9], v[37:38], -v[24:25]
	v_fma_f64 v[10:11], v[10:11], v[37:38], v[26:27]
	v_fma_f64 v[18:19], v[18:19], v[41:42], v[28:29]
	v_add_f64 v[24:25], v[14:15], -v[22:23]
	v_add_f64 v[26:27], v[12:13], -v[20:21]
	v_fma_f64 v[16:17], v[16:17], v[41:42], -v[35:36]
	v_fma_f64 v[28:29], v[30:31], -0.5, v[6:7]
	v_fma_f64 v[30:31], v[33:34], -0.5, v[4:5]
	v_add_f64 v[6:7], v[6:7], v[14:15]
	v_add_f64 v[4:5], v[4:5], v[12:13]
	;; [unrolled: 1-line block ×4, first 2 shown]
	v_fma_f64 v[35:36], v[26:27], s[4:5], v[28:29]
	v_fma_f64 v[37:38], v[24:25], s[4:5], v[30:31]
	;; [unrolled: 1-line block ×4, first 2 shown]
	v_add_f64 v[28:29], v[8:9], -v[16:17]
	v_add_f64 v[30:31], v[2:3], v[10:11]
	v_add_f64 v[8:9], v[0:1], v[8:9]
	v_fma_f64 v[2:3], v[33:34], -0.5, v[2:3]
	v_add_f64 v[10:11], v[10:11], -v[18:19]
	v_fma_f64 v[0:1], v[39:40], -0.5, v[0:1]
	v_add_f64 v[6:7], v[6:7], v[22:23]
	v_add_f64 v[4:5], v[4:5], v[20:21]
	v_mul_f64 v[12:13], v[35:36], -0.5
	v_mul_f64 v[14:15], v[37:38], s[6:7]
	v_mul_f64 v[33:34], v[26:27], s[4:5]
	v_mul_f64 v[39:40], v[24:25], -0.5
	v_add_f64 v[18:19], v[30:31], v[18:19]
	v_add_f64 v[8:9], v[8:9], v[16:17]
	v_fma_f64 v[16:17], v[28:29], s[4:5], v[2:3]
	v_fma_f64 v[20:21], v[28:29], s[6:7], v[2:3]
	;; [unrolled: 1-line block ×3, first 2 shown]
	v_fma_f64 v[22:23], v[26:27], 0.5, v[14:15]
	v_fma_f64 v[26:27], v[10:11], s[4:5], v[0:1]
	v_fma_f64 v[28:29], v[37:38], 0.5, v[33:34]
	v_fma_f64 v[24:25], v[10:11], s[6:7], v[0:1]
	v_fma_f64 v[30:31], v[35:36], s[4:5], v[39:40]
	v_add_f64 v[2:3], v[18:19], -v[6:7]
	v_add_f64 v[0:1], v[8:9], -v[4:5]
	v_add_f64 v[6:7], v[18:19], v[6:7]
	v_add_f64 v[4:5], v[8:9], v[4:5]
	v_add_f64 v[10:11], v[16:17], -v[12:13]
	v_add_f64 v[14:15], v[20:21], -v[22:23]
	v_add_f64 v[22:23], v[20:21], v[22:23]
	v_add_f64 v[20:21], v[26:27], v[28:29]
	;; [unrolled: 1-line block ×4, first 2 shown]
	v_add_f64 v[12:13], v[26:27], -v[28:29]
	v_add_f64 v[8:9], v[24:25], -v[30:31]
	v_mul_lo_u16 v24, 0x6c, v51
	v_lshlrev_b32_sdwa v25, v32, v52 dst_sel:DWORD dst_unused:UNUSED_PAD src0_sel:DWORD src1_sel:WORD_0
	v_lshlrev_b32_sdwa v24, v32, v24 dst_sel:DWORD dst_unused:UNUSED_PAD src0_sel:DWORD src1_sel:WORD_0
	v_add3_u32 v24, 0, v25, v24
	ds_write_b128 v24, v[4:7]
	ds_write_b128 v24, v[0:3] offset:864
	ds_write_b128 v24, v[20:23] offset:288
	;; [unrolled: 1-line block ×5, first 2 shown]
.LBB0_23:
	s_or_b32 exec_lo, exec_lo, s1
	v_mul_u32_u24_e32 v0, 15, v74
	s_waitcnt lgkmcnt(0)
	s_barrier
	buffer_gl0_inv
	v_lshl_add_u32 v14, v82, 4, 0
	v_lshlrev_b32_e32 v12, 4, v0
	v_lshl_add_u32 v13, v81, 4, 0
	s_mov_b32 s0, 0x667f3bcd
	s_mov_b32 s1, 0xbfe6a09e
	;; [unrolled: 1-line block ×3, first 2 shown]
	s_clause 0xe
	global_load_dwordx4 v[0:3], v12, s[12:13] offset:1680
	global_load_dwordx4 v[4:7], v12, s[12:13] offset:1696
	;; [unrolled: 1-line block ×15, first 2 shown]
	ds_read_b128 v[63:66], v87
	ds_read_b128 v[67:70], v86
	v_lshl_add_u32 v12, v80, 4, 0
	ds_read_b128 v[88:91], v14
	ds_read_b128 v[92:95], v13
	;; [unrolled: 1-line block ×3, first 2 shown]
	ds_read_b128 v[100:103], v85 offset:10368
	ds_read_b128 v[104:107], v85 offset:12096
	;; [unrolled: 1-line block ×10, first 2 shown]
	ds_read_b128 v[140:143], v85
	s_mov_b32 s4, s0
	s_mov_b32 s6, 0xcf328d46
	;; [unrolled: 1-line block ×9, first 2 shown]
	s_waitcnt vmcnt(0) lgkmcnt(0)
	s_barrier
	buffer_gl0_inv
	v_mul_f64 v[144:145], v[65:66], v[2:3]
	v_mul_f64 v[2:3], v[63:64], v[2:3]
	;; [unrolled: 1-line block ×9, first 2 shown]
	v_fma_f64 v[63:64], v[63:64], v[0:1], -v[144:145]
	v_fma_f64 v[0:1], v[65:66], v[0:1], v[2:3]
	v_mul_f64 v[2:3], v[96:97], v[21:22]
	v_mul_f64 v[21:22], v[102:103], v[25:26]
	v_mul_f64 v[25:26], v[100:101], v[25:26]
	v_mul_f64 v[65:66], v[106:107], v[29:30]
	v_fma_f64 v[67:68], v[67:68], v[4:5], -v[146:147]
	v_fma_f64 v[4:5], v[69:70], v[4:5], v[6:7]
	v_mul_f64 v[6:7], v[104:105], v[29:30]
	v_mul_f64 v[29:30], v[110:111], v[33:34]
	v_mul_f64 v[33:34], v[108:109], v[33:34]
	v_mul_f64 v[69:70], v[114:115], v[37:38]
	;; [unrolled: 6-line block ×5, first 2 shown]
	v_fma_f64 v[21:22], v[100:101], v[23:24], -v[21:22]
	v_fma_f64 v[23:24], v[102:103], v[23:24], v[25:26]
	v_mul_f64 v[25:26], v[122:123], v[61:62]
	v_fma_f64 v[61:62], v[104:105], v[27:28], -v[65:66]
	v_fma_f64 v[6:7], v[106:107], v[27:28], v[6:7]
	v_fma_f64 v[27:28], v[108:109], v[31:32], -v[29:30]
	v_fma_f64 v[29:30], v[110:111], v[31:32], v[33:34]
	;; [unrolled: 2-line block ×4, first 2 shown]
	v_fma_f64 v[17:18], v[126:127], v[43:44], v[17:18]
	v_fma_f64 v[39:40], v[132:133], v[47:48], -v[45:46]
	v_fma_f64 v[41:42], v[134:135], v[47:48], v[49:50]
	v_fma_f64 v[43:44], v[112:113], v[35:36], -v[69:70]
	v_fma_f64 v[45:46], v[128:129], v[51:52], -v[94:95]
	;; [unrolled: 1-line block ×3, first 2 shown]
	v_fma_f64 v[35:36], v[138:139], v[55:56], v[57:58]
	v_fma_f64 v[47:48], v[130:131], v[51:52], v[53:54]
	;; [unrolled: 1-line block ×3, first 2 shown]
	v_fma_f64 v[25:26], v[120:121], v[59:60], -v[25:26]
	v_add_f64 v[27:28], v[140:141], -v[27:28]
	v_add_f64 v[29:30], v[142:143], -v[29:30]
	;; [unrolled: 1-line block ×16, first 2 shown]
	v_fma_f64 v[51:52], v[140:141], 2.0, -v[27:28]
	v_fma_f64 v[53:54], v[142:143], 2.0, -v[29:30]
	;; [unrolled: 1-line block ×4, first 2 shown]
	v_add_f64 v[31:32], v[29:30], v[31:32]
	v_fma_f64 v[0:1], v[0:1], 2.0, -v[10:11]
	v_add_f64 v[57:58], v[27:28], -v[17:18]
	v_add_f64 v[65:66], v[37:38], v[39:40]
	v_add_f64 v[59:60], v[33:34], -v[41:42]
	v_fma_f64 v[15:16], v[15:16], 2.0, -v[17:18]
	v_fma_f64 v[17:18], v[67:68], 2.0, -v[33:34]
	;; [unrolled: 1-line block ×3, first 2 shown]
	v_add_f64 v[90:91], v[10:11], v[19:20]
	v_add_f64 v[69:70], v[43:44], -v[35:36]
	v_fma_f64 v[23:24], v[23:24], 2.0, -v[41:42]
	v_add_f64 v[92:93], v[45:46], -v[49:50]
	v_fma_f64 v[39:40], v[63:64], 2.0, -v[43:44]
	v_fma_f64 v[19:20], v[96:97], 2.0, -v[19:20]
	v_add_f64 v[94:95], v[47:48], v[25:26]
	v_fma_f64 v[2:3], v[2:3], 2.0, -v[35:36]
	v_fma_f64 v[35:36], v[88:89], 2.0, -v[45:46]
	;; [unrolled: 1-line block ×9, first 2 shown]
	v_add_f64 v[15:16], v[53:54], -v[15:16]
	v_fma_f64 v[49:50], v[59:60], s[4:5], v[57:58]
	v_add_f64 v[21:22], v[17:18], -v[21:22]
	v_fma_f64 v[10:11], v[10:11], 2.0, -v[90:91]
	v_fma_f64 v[41:42], v[43:44], 2.0, -v[69:70]
	v_add_f64 v[23:24], v[4:5], -v[23:24]
	v_fma_f64 v[43:44], v[45:46], 2.0, -v[92:93]
	v_fma_f64 v[61:62], v[92:93], s[4:5], v[69:70]
	v_add_f64 v[19:20], v[39:40], -v[19:20]
	v_fma_f64 v[45:46], v[47:48], 2.0, -v[94:95]
	v_add_f64 v[47:48], v[51:52], -v[55:56]
	v_add_f64 v[2:3], v[0:1], -v[2:3]
	v_fma_f64 v[55:56], v[65:66], s[4:5], v[31:32]
	v_add_f64 v[25:26], v[35:36], -v[25:26]
	v_add_f64 v[6:7], v[8:9], -v[6:7]
	v_fma_f64 v[63:64], v[94:95], s[4:5], v[90:91]
	v_fma_f64 v[88:89], v[37:38], s[0:1], v[29:30]
	;; [unrolled: 1-line block ×3, first 2 shown]
	v_fma_f64 v[53:54], v[53:54], 2.0, -v[15:16]
	v_fma_f64 v[49:50], v[65:66], s[0:1], v[49:50]
	v_fma_f64 v[17:18], v[17:18], 2.0, -v[21:22]
	v_add_f64 v[102:103], v[15:16], v[21:22]
	v_fma_f64 v[4:5], v[4:5], 2.0, -v[23:24]
	v_fma_f64 v[96:97], v[43:44], s[0:1], v[41:42]
	v_fma_f64 v[39:40], v[39:40], 2.0, -v[19:20]
	v_fma_f64 v[98:99], v[45:46], s[0:1], v[10:11]
	v_fma_f64 v[51:52], v[51:52], 2.0, -v[47:48]
	v_fma_f64 v[0:1], v[0:1], 2.0, -v[2:3]
	v_add_f64 v[100:101], v[47:48], -v[23:24]
	v_fma_f64 v[21:22], v[35:36], 2.0, -v[25:26]
	v_fma_f64 v[8:9], v[8:9], 2.0, -v[6:7]
	v_add_f64 v[6:7], v[19:20], -v[6:7]
	v_add_f64 v[23:24], v[2:3], v[25:26]
	v_fma_f64 v[55:56], v[59:60], s[4:5], v[55:56]
	v_fma_f64 v[25:26], v[94:95], s[0:1], v[61:62]
	;; [unrolled: 1-line block ×5, first 2 shown]
	v_fma_f64 v[57:58], v[57:58], 2.0, -v[49:50]
	v_fma_f64 v[65:66], v[15:16], 2.0, -v[102:103]
	v_fma_f64 v[33:34], v[45:46], s[0:1], v[96:97]
	v_add_f64 v[45:46], v[53:54], -v[4:5]
	v_fma_f64 v[37:38], v[43:44], s[4:5], v[98:99]
	v_add_f64 v[43:44], v[51:52], -v[17:18]
	v_fma_f64 v[63:64], v[47:48], 2.0, -v[100:101]
	v_add_f64 v[4:5], v[39:40], -v[21:22]
	v_add_f64 v[8:9], v[0:1], -v[8:9]
	v_fma_f64 v[21:22], v[19:20], 2.0, -v[6:7]
	v_fma_f64 v[19:20], v[2:3], 2.0, -v[23:24]
	;; [unrolled: 1-line block ×7, first 2 shown]
	v_fma_f64 v[15:16], v[23:24], s[4:5], v[102:103]
	v_fma_f64 v[17:18], v[25:26], s[16:17], v[49:50]
	;; [unrolled: 1-line block ×3, first 2 shown]
	v_fma_f64 v[41:42], v[41:42], 2.0, -v[33:34]
	v_fma_f64 v[53:54], v[53:54], 2.0, -v[45:46]
	v_fma_f64 v[104:105], v[33:34], s[14:15], v[59:60]
	v_fma_f64 v[90:91], v[10:11], 2.0, -v[37:38]
	v_fma_f64 v[10:11], v[6:7], s[4:5], v[100:101]
	;; [unrolled: 2-line block ×3, first 2 shown]
	v_fma_f64 v[29:30], v[39:40], 2.0, -v[4:5]
	v_fma_f64 v[39:40], v[0:1], 2.0, -v[8:9]
	v_fma_f64 v[92:93], v[21:22], s[0:1], v[63:64]
	v_fma_f64 v[94:95], v[19:20], s[0:1], v[65:66]
	v_add_f64 v[0:1], v[43:44], -v[8:9]
	v_fma_f64 v[96:97], v[31:32], s[8:9], v[57:58]
	v_fma_f64 v[98:99], v[47:48], s[8:9], v[67:68]
	v_add_f64 v[2:3], v[45:46], v[4:5]
	v_fma_f64 v[6:7], v[6:7], s[4:5], v[15:16]
	v_fma_f64 v[8:9], v[35:36], s[8:9], v[17:18]
	;; [unrolled: 1-line block ×7, first 2 shown]
	v_add_f64 v[15:16], v[51:52], -v[29:30]
	v_add_f64 v[17:18], v[53:54], -v[39:40]
	v_fma_f64 v[19:20], v[19:20], s[0:1], v[92:93]
	v_fma_f64 v[21:22], v[21:22], s[4:5], v[94:95]
	;; [unrolled: 1-line block ×5, first 2 shown]
	v_fma_f64 v[35:36], v[43:44], 2.0, -v[0:1]
	v_fma_f64 v[37:38], v[45:46], 2.0, -v[2:3]
	s_add_u32 s1, s12, 0x6bd0
	v_fma_f64 v[43:44], v[49:50], 2.0, -v[8:9]
	s_addc_u32 s4, s13, 0
	s_mov_b32 s5, exec_lo
	v_fma_f64 v[31:32], v[90:91], s[8:9], v[108:109]
	v_fma_f64 v[33:34], v[41:42], s[14:15], v[110:111]
	v_fma_f64 v[39:40], v[100:101], 2.0, -v[4:5]
	v_fma_f64 v[41:42], v[102:103], 2.0, -v[6:7]
	v_fma_f64 v[45:46], v[55:56], 2.0, -v[10:11]
	v_fma_f64 v[47:48], v[51:52], 2.0, -v[15:16]
	v_fma_f64 v[49:50], v[53:54], 2.0, -v[17:18]
	v_fma_f64 v[51:52], v[63:64], 2.0, -v[19:20]
	v_fma_f64 v[53:54], v[65:66], 2.0, -v[21:22]
	v_fma_f64 v[59:60], v[59:60], 2.0, -v[27:28]
	v_fma_f64 v[55:56], v[57:58], 2.0, -v[23:24]
	v_fma_f64 v[57:58], v[67:68], 2.0, -v[25:26]
	v_fma_f64 v[61:62], v[61:62], 2.0, -v[29:30]
	v_fma_f64 v[63:64], v[69:70], 2.0, -v[31:32]
	v_fma_f64 v[65:66], v[88:89], 2.0, -v[33:34]
	ds_write_b128 v85, v[0:3] offset:20736
	ds_write_b128 v85, v[4:7] offset:24192
	;; [unrolled: 1-line block ×10, first 2 shown]
	ds_write_b128 v85, v[47:50]
	ds_write_b128 v85, v[51:54] offset:3456
	ds_write_b128 v85, v[55:58] offset:5184
	;; [unrolled: 1-line block ×5, first 2 shown]
	s_waitcnt lgkmcnt(0)
	s_barrier
	buffer_gl0_inv
	ds_read_b128 v[4:7], v85
	v_lshlrev_b32_e32 v0, 4, v74
                                        ; implicit-def: $vgpr8_vgpr9
                                        ; implicit-def: $vgpr10_vgpr11
	v_sub_nc_u32_e32 v15, 0, v0
                                        ; implicit-def: $vgpr0_vgpr1
	v_cmpx_ne_u32_e32 0, v74
	s_xor_b32 s5, exec_lo, s5
	s_cbranch_execz .LBB0_25
; %bb.24:
	v_mov_b32_e32 v75, 0
	v_lshlrev_b64 v[0:1], 4, v[74:75]
	v_add_co_u32 v0, s0, s1, v0
	v_add_co_ci_u32_e64 v1, s0, s4, v1, s0
	global_load_dwordx4 v[16:19], v[0:1], off
	ds_read_b128 v[0:3], v15 offset:27648
	s_waitcnt lgkmcnt(0)
	v_add_f64 v[8:9], v[4:5], -v[0:1]
	v_add_f64 v[10:11], v[6:7], v[2:3]
	v_add_f64 v[2:3], v[6:7], -v[2:3]
	v_add_f64 v[0:1], v[4:5], v[0:1]
	v_mul_f64 v[6:7], v[8:9], 0.5
	v_mul_f64 v[4:5], v[10:11], 0.5
	;; [unrolled: 1-line block ×3, first 2 shown]
	s_waitcnt vmcnt(0)
	v_mul_f64 v[8:9], v[6:7], v[18:19]
	v_fma_f64 v[10:11], v[4:5], v[18:19], v[2:3]
	v_fma_f64 v[2:3], v[4:5], v[18:19], -v[2:3]
	v_fma_f64 v[20:21], v[0:1], 0.5, v[8:9]
	v_fma_f64 v[0:1], v[0:1], 0.5, -v[8:9]
	v_fma_f64 v[10:11], -v[16:17], v[6:7], v[10:11]
	v_fma_f64 v[2:3], -v[16:17], v[6:7], v[2:3]
	v_fma_f64 v[8:9], v[4:5], v[16:17], v[20:21]
	v_fma_f64 v[0:1], -v[4:5], v[16:17], v[0:1]
                                        ; implicit-def: $vgpr4_vgpr5
.LBB0_25:
	s_andn2_saveexec_b32 s0, s5
	s_cbranch_execz .LBB0_27
; %bb.26:
	v_mov_b32_e32 v18, 0
	s_waitcnt lgkmcnt(0)
	v_add_f64 v[8:9], v[4:5], v[6:7]
	v_add_f64 v[0:1], v[4:5], -v[6:7]
	v_mov_b32_e32 v10, 0
	v_mov_b32_e32 v11, 0
	ds_read_b64 v[16:17], v18 offset:13832
	v_mov_b32_e32 v2, v10
	v_mov_b32_e32 v3, v11
	s_waitcnt lgkmcnt(0)
	v_xor_b32_e32 v17, 0x80000000, v17
	ds_write_b64 v18, v[16:17] offset:13832
.LBB0_27:
	s_or_b32 exec_lo, exec_lo, s0
	v_mov_b32_e32 v79, 0
	ds_write2_b64 v85, v[8:9], v[10:11] offset1:1
	ds_write_b128 v15, v[0:3] offset:27648
	s_waitcnt lgkmcnt(2)
	v_lshlrev_b64 v[4:5], 4, v[78:79]
	v_mov_b32_e32 v84, v79
	v_add_nc_u32_e32 v78, 0x288, v74
	v_lshlrev_b64 v[16:17], 4, v[83:84]
	v_add_co_u32 v4, s0, s1, v4
	v_add_co_ci_u32_e64 v5, s0, s4, v5, s0
	v_mov_b32_e32 v83, v79
	v_add_co_u32 v16, s0, s1, v16
	global_load_dwordx4 v[4:7], v[4:5], off
	v_add_co_ci_u32_e64 v17, s0, s4, v17, s0
	v_lshlrev_b64 v[20:21], 4, v[82:83]
	v_mov_b32_e32 v82, v79
	global_load_dwordx4 v[16:19], v[16:17], off
	ds_read_b128 v[0:3], v87
	ds_read_b128 v[8:11], v15 offset:25920
	v_add_co_u32 v20, s0, s1, v20
	v_add_co_ci_u32_e64 v21, s0, s4, v21, s0
	global_load_dwordx4 v[20:23], v[20:21], off
	s_waitcnt lgkmcnt(0)
	v_add_f64 v[24:25], v[0:1], -v[8:9]
	v_add_f64 v[26:27], v[2:3], v[10:11]
	v_add_f64 v[2:3], v[2:3], -v[10:11]
	v_add_f64 v[0:1], v[0:1], v[8:9]
	v_mul_f64 v[10:11], v[24:25], 0.5
	v_mul_f64 v[24:25], v[26:27], 0.5
	;; [unrolled: 1-line block ×3, first 2 shown]
	s_waitcnt vmcnt(2)
	v_mul_f64 v[8:9], v[10:11], v[6:7]
	v_fma_f64 v[26:27], v[24:25], v[6:7], v[2:3]
	v_fma_f64 v[2:3], v[24:25], v[6:7], -v[2:3]
	v_fma_f64 v[6:7], v[0:1], 0.5, v[8:9]
	v_fma_f64 v[0:1], v[0:1], 0.5, -v[8:9]
	v_fma_f64 v[8:9], -v[4:5], v[10:11], v[26:27]
	v_fma_f64 v[2:3], -v[4:5], v[10:11], v[2:3]
	v_lshlrev_b64 v[10:11], 4, v[81:82]
	v_mov_b32_e32 v81, v79
	v_fma_f64 v[6:7], v[24:25], v[4:5], v[6:7]
	v_fma_f64 v[0:1], -v[24:25], v[4:5], v[0:1]
	ds_write_b64 v87, v[8:9] offset:8
	ds_write_b64 v15, v[2:3] offset:25928
	ds_write_b64 v87, v[6:7]
	ds_write_b64 v15, v[0:1] offset:25920
	v_add_co_u32 v8, s0, s1, v10
	ds_read_b128 v[0:3], v86
	ds_read_b128 v[4:7], v15 offset:24192
	v_add_co_ci_u32_e64 v9, s0, s4, v11, s0
	global_load_dwordx4 v[8:11], v[8:9], off
	s_waitcnt lgkmcnt(0)
	v_add_f64 v[24:25], v[0:1], -v[4:5]
	v_add_f64 v[26:27], v[2:3], v[6:7]
	v_add_f64 v[2:3], v[2:3], -v[6:7]
	v_add_f64 v[0:1], v[0:1], v[4:5]
	v_mul_f64 v[6:7], v[24:25], 0.5
	v_mul_f64 v[24:25], v[26:27], 0.5
	;; [unrolled: 1-line block ×3, first 2 shown]
	s_waitcnt vmcnt(2)
	v_mul_f64 v[4:5], v[6:7], v[18:19]
	v_fma_f64 v[26:27], v[24:25], v[18:19], v[2:3]
	v_fma_f64 v[2:3], v[24:25], v[18:19], -v[2:3]
	v_fma_f64 v[18:19], v[0:1], 0.5, v[4:5]
	v_fma_f64 v[0:1], v[0:1], 0.5, -v[4:5]
	v_fma_f64 v[4:5], -v[16:17], v[6:7], v[26:27]
	v_fma_f64 v[2:3], -v[16:17], v[6:7], v[2:3]
	v_fma_f64 v[6:7], v[24:25], v[16:17], v[18:19]
	v_fma_f64 v[0:1], -v[24:25], v[16:17], v[0:1]
	v_lshlrev_b64 v[16:17], 4, v[80:81]
	ds_write2_b64 v86, v[6:7], v[4:5] offset1:1
	ds_write_b128 v15, v[0:3] offset:24192
	v_add_co_u32 v16, s0, s1, v16
	ds_read_b128 v[0:3], v14
	ds_read_b128 v[4:7], v15 offset:22464
	v_add_co_ci_u32_e64 v17, s0, s4, v17, s0
	global_load_dwordx4 v[16:19], v[16:17], off
	s_waitcnt lgkmcnt(0)
	v_add_f64 v[24:25], v[0:1], -v[4:5]
	v_add_f64 v[26:27], v[2:3], v[6:7]
	v_add_f64 v[2:3], v[2:3], -v[6:7]
	v_add_f64 v[0:1], v[0:1], v[4:5]
	v_mul_f64 v[6:7], v[24:25], 0.5
	v_mul_f64 v[24:25], v[26:27], 0.5
	;; [unrolled: 1-line block ×3, first 2 shown]
	s_waitcnt vmcnt(2)
	v_mul_f64 v[4:5], v[6:7], v[22:23]
	v_fma_f64 v[26:27], v[24:25], v[22:23], v[2:3]
	v_fma_f64 v[2:3], v[24:25], v[22:23], -v[2:3]
	v_fma_f64 v[22:23], v[0:1], 0.5, v[4:5]
	v_fma_f64 v[0:1], v[0:1], 0.5, -v[4:5]
	v_fma_f64 v[4:5], -v[20:21], v[6:7], v[26:27]
	v_fma_f64 v[2:3], -v[20:21], v[6:7], v[2:3]
	v_fma_f64 v[6:7], v[24:25], v[20:21], v[22:23]
	v_fma_f64 v[0:1], -v[24:25], v[20:21], v[0:1]
	v_lshlrev_b64 v[20:21], 4, v[78:79]
	v_add_nc_u32_e32 v78, 0x2f4, v74
	ds_write2_b64 v14, v[6:7], v[4:5] offset1:1
	ds_write_b128 v15, v[0:3] offset:22464
	v_add_co_u32 v20, s0, s1, v20
	ds_read_b128 v[0:3], v13
	ds_read_b128 v[4:7], v15 offset:20736
	v_add_co_ci_u32_e64 v21, s0, s4, v21, s0
	global_load_dwordx4 v[20:23], v[20:21], off
	s_waitcnt lgkmcnt(0)
	v_add_f64 v[24:25], v[0:1], -v[4:5]
	v_add_f64 v[26:27], v[2:3], v[6:7]
	v_add_f64 v[2:3], v[2:3], -v[6:7]
	v_add_f64 v[0:1], v[0:1], v[4:5]
	v_mul_f64 v[6:7], v[24:25], 0.5
	v_mul_f64 v[24:25], v[26:27], 0.5
	;; [unrolled: 1-line block ×3, first 2 shown]
	s_waitcnt vmcnt(2)
	v_mul_f64 v[4:5], v[6:7], v[10:11]
	v_fma_f64 v[26:27], v[24:25], v[10:11], v[2:3]
	v_fma_f64 v[2:3], v[24:25], v[10:11], -v[2:3]
	v_fma_f64 v[10:11], v[0:1], 0.5, v[4:5]
	v_fma_f64 v[0:1], v[0:1], 0.5, -v[4:5]
	v_fma_f64 v[4:5], -v[8:9], v[6:7], v[26:27]
	v_fma_f64 v[2:3], -v[8:9], v[6:7], v[2:3]
	v_fma_f64 v[6:7], v[24:25], v[8:9], v[10:11]
	v_fma_f64 v[0:1], -v[24:25], v[8:9], v[0:1]
	v_lshlrev_b64 v[8:9], 4, v[78:79]
	ds_write2_b64 v13, v[6:7], v[4:5] offset1:1
	ds_write_b128 v15, v[0:3] offset:20736
	v_add_co_u32 v8, s0, s1, v8
	ds_read_b128 v[0:3], v12
	ds_read_b128 v[4:7], v15 offset:19008
	v_add_co_ci_u32_e64 v9, s0, s4, v9, s0
	global_load_dwordx4 v[8:11], v[8:9], off
	s_waitcnt lgkmcnt(0)
	v_add_f64 v[13:14], v[0:1], -v[4:5]
	v_add_f64 v[24:25], v[2:3], v[6:7]
	v_add_f64 v[2:3], v[2:3], -v[6:7]
	v_add_f64 v[0:1], v[0:1], v[4:5]
	v_mul_f64 v[6:7], v[13:14], 0.5
	v_mul_f64 v[13:14], v[24:25], 0.5
	;; [unrolled: 1-line block ×3, first 2 shown]
	s_waitcnt vmcnt(2)
	v_mul_f64 v[4:5], v[6:7], v[18:19]
	v_fma_f64 v[24:25], v[13:14], v[18:19], v[2:3]
	v_fma_f64 v[2:3], v[13:14], v[18:19], -v[2:3]
	v_fma_f64 v[18:19], v[0:1], 0.5, v[4:5]
	v_fma_f64 v[0:1], v[0:1], 0.5, -v[4:5]
	v_fma_f64 v[4:5], -v[16:17], v[6:7], v[24:25]
	v_fma_f64 v[2:3], -v[16:17], v[6:7], v[2:3]
	v_fma_f64 v[6:7], v[13:14], v[16:17], v[18:19]
	v_fma_f64 v[0:1], -v[13:14], v[16:17], v[0:1]
	v_add_nc_u32_e32 v14, 0x2800, v85
	ds_write2_b64 v12, v[6:7], v[4:5] offset1:1
	ds_write_b128 v15, v[0:3] offset:19008
	ds_read_b128 v[0:3], v85 offset:10368
	ds_read_b128 v[4:7], v15 offset:17280
	s_waitcnt lgkmcnt(0)
	v_add_f64 v[12:13], v[0:1], -v[4:5]
	v_add_f64 v[16:17], v[2:3], v[6:7]
	v_add_f64 v[2:3], v[2:3], -v[6:7]
	v_add_f64 v[0:1], v[0:1], v[4:5]
	v_mul_f64 v[6:7], v[12:13], 0.5
	v_mul_f64 v[12:13], v[16:17], 0.5
	;; [unrolled: 1-line block ×3, first 2 shown]
	s_waitcnt vmcnt(1)
	v_mul_f64 v[4:5], v[6:7], v[22:23]
	v_fma_f64 v[16:17], v[12:13], v[22:23], v[2:3]
	v_fma_f64 v[2:3], v[12:13], v[22:23], -v[2:3]
	v_fma_f64 v[18:19], v[0:1], 0.5, v[4:5]
	v_fma_f64 v[0:1], v[0:1], 0.5, -v[4:5]
	v_fma_f64 v[4:5], -v[20:21], v[6:7], v[16:17]
	v_fma_f64 v[2:3], -v[20:21], v[6:7], v[2:3]
	v_fma_f64 v[6:7], v[12:13], v[20:21], v[18:19]
	v_fma_f64 v[0:1], -v[12:13], v[20:21], v[0:1]
	ds_write2_b64 v14, v[6:7], v[4:5] offset0:16 offset1:17
	ds_write_b128 v15, v[0:3] offset:17280
	ds_read_b128 v[0:3], v85 offset:12096
	ds_read_b128 v[4:7], v15 offset:15552
	s_waitcnt lgkmcnt(0)
	v_add_f64 v[12:13], v[0:1], -v[4:5]
	v_add_f64 v[16:17], v[2:3], v[6:7]
	v_add_f64 v[2:3], v[2:3], -v[6:7]
	v_add_f64 v[0:1], v[0:1], v[4:5]
	v_mul_f64 v[6:7], v[12:13], 0.5
	v_mul_f64 v[12:13], v[16:17], 0.5
	;; [unrolled: 1-line block ×3, first 2 shown]
	s_waitcnt vmcnt(0)
	v_mul_f64 v[4:5], v[6:7], v[10:11]
	v_fma_f64 v[16:17], v[12:13], v[10:11], v[2:3]
	v_fma_f64 v[2:3], v[12:13], v[10:11], -v[2:3]
	v_fma_f64 v[10:11], v[0:1], 0.5, v[4:5]
	v_fma_f64 v[0:1], v[0:1], 0.5, -v[4:5]
	v_fma_f64 v[4:5], -v[8:9], v[6:7], v[16:17]
	v_fma_f64 v[2:3], -v[8:9], v[6:7], v[2:3]
	v_fma_f64 v[6:7], v[12:13], v[8:9], v[10:11]
	v_fma_f64 v[0:1], -v[12:13], v[8:9], v[0:1]
	ds_write2_b64 v14, v[6:7], v[4:5] offset0:232 offset1:233
	ds_write_b128 v15, v[0:3] offset:15552
	s_waitcnt lgkmcnt(0)
	s_barrier
	buffer_gl0_inv
	s_and_saveexec_b32 s0, vcc_lo
	s_cbranch_execz .LBB0_30
; %bb.28:
	v_mul_lo_u32 v2, s3, v76
	v_mul_lo_u32 v3, s2, v77
	v_mad_u64_u32 v[0:1], null, s2, v76, 0
	v_mov_b32_e32 v75, v79
	v_lshlrev_b64 v[10:11], 4, v[72:73]
	v_lshl_add_u32 v28, v74, 4, 0
	v_add_nc_u32_e32 v78, 0x6c, v74
	v_lshlrev_b64 v[12:13], 4, v[74:75]
	v_add3_u32 v1, v1, v3, v2
	ds_read_b128 v[2:5], v28
	ds_read_b128 v[6:9], v28 offset:1728
	v_lshlrev_b64 v[18:19], 4, v[78:79]
	v_add_nc_u32_e32 v78, 0xd8, v74
	v_lshlrev_b64 v[0:1], 4, v[0:1]
	v_lshlrev_b64 v[20:21], 4, v[78:79]
	v_add_nc_u32_e32 v78, 0x144, v74
	v_add_co_u32 v0, vcc_lo, s10, v0
	v_add_co_ci_u32_e32 v1, vcc_lo, s11, v1, vcc_lo
	v_lshlrev_b64 v[24:25], 4, v[78:79]
	v_add_co_u32 v0, vcc_lo, v0, v10
	v_add_co_ci_u32_e32 v1, vcc_lo, v1, v11, vcc_lo
	v_add_nc_u32_e32 v78, 0x1b0, v74
	v_add_co_u32 v22, vcc_lo, v0, v12
	v_add_co_ci_u32_e32 v23, vcc_lo, v1, v13, vcc_lo
	ds_read_b128 v[10:13], v28 offset:3456
	ds_read_b128 v[14:17], v28 offset:5184
	v_add_co_u32 v18, vcc_lo, v0, v18
	v_add_co_ci_u32_e32 v19, vcc_lo, v1, v19, vcc_lo
	v_add_co_u32 v20, vcc_lo, v0, v20
	v_add_co_ci_u32_e32 v21, vcc_lo, v1, v21, vcc_lo
	v_add_co_u32 v24, vcc_lo, v0, v24
	v_lshlrev_b64 v[26:27], 4, v[78:79]
	v_add_nc_u32_e32 v78, 0x21c, v74
	v_add_co_ci_u32_e32 v25, vcc_lo, v1, v25, vcc_lo
	s_waitcnt lgkmcnt(3)
	global_store_dwordx4 v[22:23], v[2:5], off
	s_waitcnt lgkmcnt(2)
	global_store_dwordx4 v[18:19], v[6:9], off
	;; [unrolled: 2-line block ×4, first 2 shown]
	v_lshlrev_b64 v[18:19], 4, v[78:79]
	v_add_nc_u32_e32 v78, 0x288, v74
	ds_read_b128 v[2:5], v28 offset:6912
	ds_read_b128 v[6:9], v28 offset:8640
	;; [unrolled: 1-line block ×4, first 2 shown]
	v_add_co_u32 v20, vcc_lo, v0, v26
	v_lshlrev_b64 v[22:23], 4, v[78:79]
	v_add_nc_u32_e32 v78, 0x2f4, v74
	v_add_co_ci_u32_e32 v21, vcc_lo, v1, v27, vcc_lo
	v_add_co_u32 v18, vcc_lo, v0, v18
	v_lshlrev_b64 v[24:25], 4, v[78:79]
	v_add_co_ci_u32_e32 v19, vcc_lo, v1, v19, vcc_lo
	v_add_co_u32 v22, vcc_lo, v0, v22
	v_add_co_ci_u32_e32 v23, vcc_lo, v1, v23, vcc_lo
	v_add_nc_u32_e32 v78, 0x360, v74
	v_add_co_u32 v24, vcc_lo, v0, v24
	v_add_co_ci_u32_e32 v25, vcc_lo, v1, v25, vcc_lo
	v_lshlrev_b64 v[26:27], 4, v[78:79]
	v_add_nc_u32_e32 v78, 0x3cc, v74
	s_waitcnt lgkmcnt(3)
	global_store_dwordx4 v[20:21], v[2:5], off
	s_waitcnt lgkmcnt(2)
	global_store_dwordx4 v[18:19], v[6:9], off
	;; [unrolled: 2-line block ×4, first 2 shown]
	ds_read_b128 v[2:5], v28 offset:13824
	ds_read_b128 v[6:9], v28 offset:15552
	;; [unrolled: 1-line block ×4, first 2 shown]
	v_lshlrev_b64 v[18:19], 4, v[78:79]
	v_add_nc_u32_e32 v78, 0x438, v74
	v_add_co_u32 v20, vcc_lo, v0, v26
	v_add_co_ci_u32_e32 v21, vcc_lo, v1, v27, vcc_lo
	v_lshlrev_b64 v[22:23], 4, v[78:79]
	v_add_nc_u32_e32 v78, 0x4a4, v74
	v_add_co_u32 v18, vcc_lo, v0, v18
	v_add_co_ci_u32_e32 v19, vcc_lo, v1, v19, vcc_lo
	v_lshlrev_b64 v[24:25], 4, v[78:79]
	v_add_nc_u32_e32 v78, 0x510, v74
	v_add_co_u32 v22, vcc_lo, v0, v22
	s_waitcnt lgkmcnt(3)
	global_store_dwordx4 v[20:21], v[2:5], off
	v_add_co_ci_u32_e32 v23, vcc_lo, v1, v23, vcc_lo
	v_lshlrev_b64 v[2:3], 4, v[78:79]
	v_add_nc_u32_e32 v78, 0x57c, v74
	v_add_co_u32 v24, vcc_lo, v0, v24
	v_add_co_ci_u32_e32 v25, vcc_lo, v1, v25, vcc_lo
	v_lshlrev_b64 v[20:21], 4, v[78:79]
	v_add_nc_u32_e32 v78, 0x5e8, v74
	s_waitcnt lgkmcnt(2)
	global_store_dwordx4 v[18:19], v[6:9], off
	s_waitcnt lgkmcnt(1)
	global_store_dwordx4 v[22:23], v[10:13], off
	s_waitcnt lgkmcnt(0)
	global_store_dwordx4 v[24:25], v[14:17], off
	v_add_co_u32 v18, vcc_lo, v0, v2
	v_add_co_ci_u32_e32 v19, vcc_lo, v1, v3, vcc_lo
	ds_read_b128 v[2:5], v28 offset:20736
	ds_read_b128 v[6:9], v28 offset:22464
	;; [unrolled: 1-line block ×4, first 2 shown]
	v_lshlrev_b64 v[22:23], 4, v[78:79]
	v_add_nc_u32_e32 v78, 0x654, v74
	v_add_co_u32 v20, vcc_lo, v0, v20
	v_add_co_ci_u32_e32 v21, vcc_lo, v1, v21, vcc_lo
	v_lshlrev_b64 v[24:25], 4, v[78:79]
	v_add_co_u32 v22, vcc_lo, v0, v22
	v_add_co_ci_u32_e32 v23, vcc_lo, v1, v23, vcc_lo
	v_add_co_u32 v24, vcc_lo, v0, v24
	v_add_co_ci_u32_e32 v25, vcc_lo, v1, v25, vcc_lo
	v_cmp_eq_u32_e32 vcc_lo, 0x6b, v74
	s_waitcnt lgkmcnt(3)
	global_store_dwordx4 v[18:19], v[2:5], off
	s_waitcnt lgkmcnt(2)
	global_store_dwordx4 v[20:21], v[6:9], off
	;; [unrolled: 2-line block ×4, first 2 shown]
	s_and_b32 exec_lo, exec_lo, vcc_lo
	s_cbranch_execz .LBB0_30
; %bb.29:
	v_mov_b32_e32 v2, 0
	v_add_co_u32 v0, vcc_lo, 0x6800, v0
	v_add_co_ci_u32_e32 v1, vcc_lo, 0, v1, vcc_lo
	ds_read_b128 v[2:5], v2 offset:27648
	s_waitcnt lgkmcnt(0)
	global_store_dwordx4 v[0:1], v[2:5], off offset:1024
.LBB0_30:
	s_endpgm
	.section	.rodata,"a",@progbits
	.p2align	6, 0x0
	.amdhsa_kernel fft_rtc_fwd_len1728_factors_3_6_6_16_wgs_108_tpt_108_halfLds_dp_op_CI_CI_unitstride_sbrr_R2C_dirReg
		.amdhsa_group_segment_fixed_size 0
		.amdhsa_private_segment_fixed_size 0
		.amdhsa_kernarg_size 104
		.amdhsa_user_sgpr_count 6
		.amdhsa_user_sgpr_private_segment_buffer 1
		.amdhsa_user_sgpr_dispatch_ptr 0
		.amdhsa_user_sgpr_queue_ptr 0
		.amdhsa_user_sgpr_kernarg_segment_ptr 1
		.amdhsa_user_sgpr_dispatch_id 0
		.amdhsa_user_sgpr_flat_scratch_init 0
		.amdhsa_user_sgpr_private_segment_size 0
		.amdhsa_wavefront_size32 1
		.amdhsa_uses_dynamic_stack 0
		.amdhsa_system_sgpr_private_segment_wavefront_offset 0
		.amdhsa_system_sgpr_workgroup_id_x 1
		.amdhsa_system_sgpr_workgroup_id_y 0
		.amdhsa_system_sgpr_workgroup_id_z 0
		.amdhsa_system_sgpr_workgroup_info 0
		.amdhsa_system_vgpr_workitem_id 0
		.amdhsa_next_free_vgpr 154
		.amdhsa_next_free_sgpr 27
		.amdhsa_reserve_vcc 1
		.amdhsa_reserve_flat_scratch 0
		.amdhsa_float_round_mode_32 0
		.amdhsa_float_round_mode_16_64 0
		.amdhsa_float_denorm_mode_32 3
		.amdhsa_float_denorm_mode_16_64 3
		.amdhsa_dx10_clamp 1
		.amdhsa_ieee_mode 1
		.amdhsa_fp16_overflow 0
		.amdhsa_workgroup_processor_mode 1
		.amdhsa_memory_ordered 1
		.amdhsa_forward_progress 0
		.amdhsa_shared_vgpr_count 0
		.amdhsa_exception_fp_ieee_invalid_op 0
		.amdhsa_exception_fp_denorm_src 0
		.amdhsa_exception_fp_ieee_div_zero 0
		.amdhsa_exception_fp_ieee_overflow 0
		.amdhsa_exception_fp_ieee_underflow 0
		.amdhsa_exception_fp_ieee_inexact 0
		.amdhsa_exception_int_div_zero 0
	.end_amdhsa_kernel
	.text
.Lfunc_end0:
	.size	fft_rtc_fwd_len1728_factors_3_6_6_16_wgs_108_tpt_108_halfLds_dp_op_CI_CI_unitstride_sbrr_R2C_dirReg, .Lfunc_end0-fft_rtc_fwd_len1728_factors_3_6_6_16_wgs_108_tpt_108_halfLds_dp_op_CI_CI_unitstride_sbrr_R2C_dirReg
                                        ; -- End function
	.section	.AMDGPU.csdata,"",@progbits
; Kernel info:
; codeLenInByte = 12860
; NumSgprs: 29
; NumVgprs: 154
; ScratchSize: 0
; MemoryBound: 0
; FloatMode: 240
; IeeeMode: 1
; LDSByteSize: 0 bytes/workgroup (compile time only)
; SGPRBlocks: 3
; VGPRBlocks: 19
; NumSGPRsForWavesPerEU: 29
; NumVGPRsForWavesPerEU: 154
; Occupancy: 6
; WaveLimiterHint : 1
; COMPUTE_PGM_RSRC2:SCRATCH_EN: 0
; COMPUTE_PGM_RSRC2:USER_SGPR: 6
; COMPUTE_PGM_RSRC2:TRAP_HANDLER: 0
; COMPUTE_PGM_RSRC2:TGID_X_EN: 1
; COMPUTE_PGM_RSRC2:TGID_Y_EN: 0
; COMPUTE_PGM_RSRC2:TGID_Z_EN: 0
; COMPUTE_PGM_RSRC2:TIDIG_COMP_CNT: 0
	.text
	.p2alignl 6, 3214868480
	.fill 48, 4, 3214868480
	.type	__hip_cuid_7743465848257deb,@object ; @__hip_cuid_7743465848257deb
	.section	.bss,"aw",@nobits
	.globl	__hip_cuid_7743465848257deb
__hip_cuid_7743465848257deb:
	.byte	0                               ; 0x0
	.size	__hip_cuid_7743465848257deb, 1

	.ident	"AMD clang version 19.0.0git (https://github.com/RadeonOpenCompute/llvm-project roc-6.4.0 25133 c7fe45cf4b819c5991fe208aaa96edf142730f1d)"
	.section	".note.GNU-stack","",@progbits
	.addrsig
	.addrsig_sym __hip_cuid_7743465848257deb
	.amdgpu_metadata
---
amdhsa.kernels:
  - .args:
      - .actual_access:  read_only
        .address_space:  global
        .offset:         0
        .size:           8
        .value_kind:     global_buffer
      - .offset:         8
        .size:           8
        .value_kind:     by_value
      - .actual_access:  read_only
        .address_space:  global
        .offset:         16
        .size:           8
        .value_kind:     global_buffer
      - .actual_access:  read_only
        .address_space:  global
        .offset:         24
        .size:           8
        .value_kind:     global_buffer
      - .actual_access:  read_only
        .address_space:  global
        .offset:         32
        .size:           8
        .value_kind:     global_buffer
      - .offset:         40
        .size:           8
        .value_kind:     by_value
      - .actual_access:  read_only
        .address_space:  global
        .offset:         48
        .size:           8
        .value_kind:     global_buffer
      - .actual_access:  read_only
        .address_space:  global
        .offset:         56
        .size:           8
        .value_kind:     global_buffer
      - .offset:         64
        .size:           4
        .value_kind:     by_value
      - .actual_access:  read_only
        .address_space:  global
        .offset:         72
        .size:           8
        .value_kind:     global_buffer
      - .actual_access:  read_only
        .address_space:  global
        .offset:         80
        .size:           8
        .value_kind:     global_buffer
      - .actual_access:  read_only
        .address_space:  global
        .offset:         88
        .size:           8
        .value_kind:     global_buffer
      - .actual_access:  write_only
        .address_space:  global
        .offset:         96
        .size:           8
        .value_kind:     global_buffer
    .group_segment_fixed_size: 0
    .kernarg_segment_align: 8
    .kernarg_segment_size: 104
    .language:       OpenCL C
    .language_version:
      - 2
      - 0
    .max_flat_workgroup_size: 108
    .name:           fft_rtc_fwd_len1728_factors_3_6_6_16_wgs_108_tpt_108_halfLds_dp_op_CI_CI_unitstride_sbrr_R2C_dirReg
    .private_segment_fixed_size: 0
    .sgpr_count:     29
    .sgpr_spill_count: 0
    .symbol:         fft_rtc_fwd_len1728_factors_3_6_6_16_wgs_108_tpt_108_halfLds_dp_op_CI_CI_unitstride_sbrr_R2C_dirReg.kd
    .uniform_work_group_size: 1
    .uses_dynamic_stack: false
    .vgpr_count:     154
    .vgpr_spill_count: 0
    .wavefront_size: 32
    .workgroup_processor_mode: 1
amdhsa.target:   amdgcn-amd-amdhsa--gfx1030
amdhsa.version:
  - 1
  - 2
...

	.end_amdgpu_metadata
